;; amdgpu-corpus repo=ROCm/rocFFT kind=compiled arch=gfx906 opt=O3
	.text
	.amdgcn_target "amdgcn-amd-amdhsa--gfx906"
	.amdhsa_code_object_version 6
	.protected	fft_rtc_back_len208_factors_2_8_13_wgs_247_tpt_13_dim3_sp_ip_CI_sbcc_twdbase8_3step_dirReg_intrinsicReadWrite ; -- Begin function fft_rtc_back_len208_factors_2_8_13_wgs_247_tpt_13_dim3_sp_ip_CI_sbcc_twdbase8_3step_dirReg_intrinsicReadWrite
	.globl	fft_rtc_back_len208_factors_2_8_13_wgs_247_tpt_13_dim3_sp_ip_CI_sbcc_twdbase8_3step_dirReg_intrinsicReadWrite
	.p2align	8
	.type	fft_rtc_back_len208_factors_2_8_13_wgs_247_tpt_13_dim3_sp_ip_CI_sbcc_twdbase8_3step_dirReg_intrinsicReadWrite,@function
fft_rtc_back_len208_factors_2_8_13_wgs_247_tpt_13_dim3_sp_ip_CI_sbcc_twdbase8_3step_dirReg_intrinsicReadWrite: ; @fft_rtc_back_len208_factors_2_8_13_wgs_247_tpt_13_dim3_sp_ip_CI_sbcc_twdbase8_3step_dirReg_intrinsicReadWrite
; %bb.0:
	s_load_dwordx4 s[0:3], s[4:5], 0x10
	s_mov_b32 s7, 0
	s_mov_b64 s[20:21], 0
	s_waitcnt lgkmcnt(0)
	s_load_dwordx2 s[10:11], s[0:1], 0x8
	s_waitcnt lgkmcnt(0)
	s_add_u32 s8, s10, -1
	s_addc_u32 s9, s11, -1
	s_add_u32 s12, 0, 0x50d6f500
	s_addc_u32 s13, 0, 46
	s_mul_hi_u32 s15, s12, 0xffffffed
	s_add_i32 s13, s13, 0xd794330
	s_sub_i32 s15, s15, s12
	s_mul_i32 s18, s13, 0xffffffed
	s_mul_i32 s14, s12, 0xffffffed
	s_add_i32 s15, s15, s18
	s_mul_hi_u32 s16, s13, s14
	s_mul_i32 s17, s13, s14
	s_mul_i32 s19, s12, s15
	s_mul_hi_u32 s14, s12, s14
	s_mul_hi_u32 s18, s12, s15
	s_add_u32 s14, s14, s19
	s_addc_u32 s18, 0, s18
	s_add_u32 s14, s14, s17
	s_mul_hi_u32 s19, s13, s15
	s_addc_u32 s14, s18, s16
	s_addc_u32 s16, s19, 0
	s_mul_i32 s15, s13, s15
	s_add_u32 s14, s14, s15
	v_mov_b32_e32 v1, s14
	s_addc_u32 s15, 0, s16
	v_add_co_u32_e32 v1, vcc, s12, v1
	s_cmp_lg_u64 vcc, 0
	s_addc_u32 s12, s13, s15
	v_readfirstlane_b32 s15, v1
	s_mul_i32 s14, s8, s12
	s_mul_hi_u32 s16, s8, s15
	s_mul_hi_u32 s13, s8, s12
	s_add_u32 s14, s16, s14
	s_addc_u32 s13, 0, s13
	s_mul_hi_u32 s17, s9, s15
	s_mul_i32 s15, s9, s15
	s_add_u32 s14, s14, s15
	s_mul_hi_u32 s16, s9, s12
	s_addc_u32 s13, s13, s17
	s_addc_u32 s14, s16, 0
	s_mul_i32 s12, s9, s12
	s_add_u32 s12, s13, s12
	s_addc_u32 s13, 0, s14
	s_add_u32 s14, s12, 1
	s_addc_u32 s15, s13, 0
	s_add_u32 s16, s12, 2
	s_mul_i32 s18, s13, 19
	s_mul_hi_u32 s19, s12, 19
	s_addc_u32 s17, s13, 0
	s_add_i32 s19, s19, s18
	s_mul_i32 s18, s12, 19
	v_mov_b32_e32 v1, s18
	v_sub_co_u32_e32 v1, vcc, s8, v1
	s_cmp_lg_u64 vcc, 0
	s_subb_u32 s8, s9, s19
	v_subrev_co_u32_e32 v2, vcc, 19, v1
	s_cmp_lg_u64 vcc, 0
	s_subb_u32 s9, s8, 0
	v_readfirstlane_b32 s18, v2
	s_cmp_gt_u32 s18, 18
	s_cselect_b32 s18, -1, 0
	s_cmp_eq_u32 s9, 0
	s_cselect_b32 s9, s18, -1
	s_cmp_lg_u32 s9, 0
	s_cselect_b32 s9, s16, s14
	s_cselect_b32 s14, s17, s15
	v_readfirstlane_b32 s15, v1
	s_cmp_gt_u32 s15, 18
	s_cselect_b32 s15, -1, 0
	s_cmp_eq_u32 s8, 0
	s_cselect_b32 s8, s15, -1
	s_cmp_lg_u32 s8, 0
	s_cselect_b32 s9, s9, s12
	s_cselect_b32 s8, s14, s13
	s_add_u32 s18, s9, 1
	s_addc_u32 s19, s8, 0
	v_mov_b32_e32 v1, s18
	v_mov_b32_e32 v2, s19
	v_cmp_lt_u64_e32 vcc, s[6:7], v[1:2]
	s_cbranch_vccnz .LBB0_2
; %bb.1:
	v_cvt_f32_u32_e32 v1, s18
	s_sub_i32 s8, 0, s18
	s_mov_b32 s21, s7
	v_rcp_iflag_f32_e32 v1, v1
	v_mul_f32_e32 v1, 0x4f7ffffe, v1
	v_cvt_u32_f32_e32 v1, v1
	v_readfirstlane_b32 s9, v1
	s_mul_i32 s8, s8, s9
	s_mul_hi_u32 s8, s9, s8
	s_add_i32 s9, s9, s8
	s_mul_hi_u32 s8, s6, s9
	s_mul_i32 s12, s8, s18
	s_sub_i32 s12, s6, s12
	s_add_i32 s9, s8, 1
	s_sub_i32 s13, s12, s18
	s_cmp_ge_u32 s12, s18
	s_cselect_b32 s8, s9, s8
	s_cselect_b32 s12, s13, s12
	s_add_i32 s9, s8, 1
	s_cmp_ge_u32 s12, s18
	s_cselect_b32 s20, s9, s8
.LBB0_2:
	s_load_dwordx2 s[22:23], s[0:1], 0x10
	s_load_dwordx2 s[8:9], s[4:5], 0x50
	;; [unrolled: 1-line block ×3, first 2 shown]
	s_load_dwordx4 s[12:15], s[2:3], 0x0
	s_mov_b64 s[0:1], s[20:21]
	s_waitcnt lgkmcnt(0)
	v_mov_b32_e32 v1, s22
	v_mov_b32_e32 v2, s23
	v_cmp_lt_u64_e32 vcc, s[20:21], v[1:2]
	s_cbranch_vccnz .LBB0_4
; %bb.3:
	v_cvt_f32_u32_e32 v1, s22
	s_sub_i32 s0, 0, s22
	v_rcp_iflag_f32_e32 v1, v1
	v_mul_f32_e32 v1, 0x4f7ffffe, v1
	v_cvt_u32_f32_e32 v1, v1
	v_readfirstlane_b32 s1, v1
	s_mul_i32 s0, s0, s1
	s_mul_hi_u32 s0, s1, s0
	s_add_i32 s1, s1, s0
	s_mul_hi_u32 s0, s20, s1
	s_mul_i32 s0, s0, s22
	s_sub_i32 s0, s20, s0
	s_sub_i32 s1, s0, s22
	s_cmp_ge_u32 s0, s22
	s_cselect_b32 s0, s1, s0
	s_sub_i32 s1, s0, s22
	s_cmp_ge_u32 s0, s22
	s_cselect_b32 s0, s1, s0
.LBB0_4:
	s_mul_i32 s1, s22, s19
	s_mul_hi_u32 s13, s22, s18
	s_add_i32 s1, s13, s1
	s_mul_i32 s13, s23, s18
	s_mul_i32 s24, s22, s18
	s_add_i32 s25, s1, s13
	s_load_dwordx2 s[22:23], s[2:3], 0x10
	v_mov_b32_e32 v1, s24
	v_mov_b32_e32 v2, s25
	v_cmp_lt_u64_e32 vcc, s[6:7], v[1:2]
	s_mov_b64 s[26:27], 0
	s_cbranch_vccnz .LBB0_6
; %bb.5:
	v_cvt_f32_u32_e32 v1, s24
	s_sub_i32 s1, 0, s24
	v_rcp_iflag_f32_e32 v1, v1
	v_mul_f32_e32 v1, 0x4f7ffffe, v1
	v_cvt_u32_f32_e32 v1, v1
	v_readfirstlane_b32 s7, v1
	s_mul_i32 s1, s1, s7
	s_mul_hi_u32 s1, s7, s1
	s_add_i32 s7, s7, s1
	s_mul_hi_u32 s1, s6, s7
	s_mul_i32 s13, s1, s24
	s_sub_i32 s13, s6, s13
	s_add_i32 s7, s1, 1
	s_sub_i32 s15, s13, s24
	s_cmp_ge_u32 s13, s24
	s_cselect_b32 s1, s7, s1
	s_cselect_b32 s13, s15, s13
	s_add_i32 s7, s1, 1
	s_cmp_ge_u32 s13, s24
	s_cselect_b32 s26, s7, s1
.LBB0_6:
	s_mul_i32 s1, s20, s19
	s_mul_hi_u32 s7, s20, s18
	s_load_dword s2, s[2:3], 0x18
	s_add_i32 s7, s7, s1
	s_mul_i32 s1, s20, s18
	s_sub_u32 s1, s6, s1
	s_subb_u32 s6, 0, s7
	s_mul_hi_u32 s7, s1, 19
	s_mul_i32 s1, s1, 19
	v_mul_u32_u24_e32 v36, 0xd7a, v0
	s_mul_i32 s3, s14, s1
	s_waitcnt lgkmcnt(0)
	s_mul_i32 s0, s22, s0
	v_lshrrev_b32_e32 v58, 16, v36
	s_mul_i32 s6, s6, 19
	s_add_i32 s0, s0, s3
	s_mul_i32 s2, s2, s26
	v_mul_lo_u16_e32 v1, 19, v58
	s_add_i32 s6, s7, s6
	s_add_i32 s7, s2, s0
	v_sub_u16_e32 v37, v0, v1
	v_mov_b32_e32 v1, s6
	v_add_co_u32_e32 v3, vcc, s1, v37
	s_add_u32 s0, s1, 19
	v_mov_b32_e32 v5, s10
	v_addc_co_u32_e32 v4, vcc, 0, v1, vcc
	s_addc_u32 s1, s6, 0
	v_mov_b32_e32 v6, s11
	v_add_u32_e32 v56, 13, v58
	v_mad_u64_u32 v[1:2], s[2:3], s14, v37, 0
	v_cmp_le_u64_e64 s[0:1], s[0:1], v[5:6]
	v_cmp_gt_u64_e32 vcc, s[10:11], v[3:4]
	v_mul_lo_u32 v4, s12, v56
	v_add_u32_e32 v5, 0x75, v58
	v_add_u32_e32 v6, 0x82, v58
	v_mul_lo_u32 v5, s12, v5
	v_mul_lo_u32 v6, s12, v6
	v_add_u32_e32 v8, 39, v58
	v_mul_lo_u32 v8, s12, v8
	s_or_b64 s[2:3], s[0:1], vcc
	v_add_lshl_u32 v4, v1, v4, 3
	v_cndmask_b32_e64 v16, -1, v4, s[2:3]
	v_add_lshl_u32 v4, v1, v5, 3
	v_add_u32_e32 v5, 26, v58
	v_add_lshl_u32 v6, v1, v6, 3
	v_mul_lo_u32 v7, s12, v5
	v_add_u32_e32 v9, 0x8f, v58
	v_cndmask_b32_e64 v15, -1, v6, s[2:3]
	v_add_lshl_u32 v6, v1, v8, 3
	v_mul_lo_u32 v9, s12, v9
	v_cndmask_b32_e64 v17, -1, v6, s[2:3]
	v_add_u32_e32 v6, 0x68, v58
	v_mul_lo_u32 v19, s12, v6
	v_add_lshl_u32 v7, v1, v7, 3
	s_lshl_b32 s13, s7, 3
	s_mov_b32 s11, 0x20000
	s_mov_b32 s10, -2
	v_cndmask_b32_e64 v4, -1, v4, s[2:3]
	v_cndmask_b32_e64 v14, -1, v7, s[2:3]
	v_add_lshl_u32 v7, v1, v9, 3
	v_mul_lo_u32 v57, s12, v58
	buffer_load_dwordx2 v[4:5], v4, s[8:11], s13 offen
	v_cndmask_b32_e64 v18, -1, v7, s[2:3]
	buffer_load_dwordx2 v[6:7], v14, s[8:11], s13 offen
	buffer_load_dwordx2 v[8:9], v15, s[8:11], s13 offen
	;; [unrolled: 1-line block ×4, first 2 shown]
	v_add_lshl_u32 v14, v1, v19, 3
	v_add_u32_e32 v19, 0x9c, v58
	v_mul_lo_u32 v20, s12, v19
	v_add_u32_e32 v21, 0x41, v58
	v_mul_lo_u32 v21, s12, v21
	;; [unrolled: 2-line block ×3, first 2 shown]
	v_add_lshl_u32 v2, v1, v57, 3
	v_cndmask_b32_e64 v2, -1, v2, s[2:3]
	v_add_lshl_u32 v20, v1, v20, 3
	v_cndmask_b32_e64 v18, -1, v14, s[2:3]
	buffer_load_dwordx2 v[14:15], v2, s[8:11], s13 offen
	v_add_u32_e32 v38, 52, v58
	buffer_load_dwordx2 v[16:17], v16, s[8:11], s13 offen
	v_cndmask_b32_e64 v28, -1, v20, s[2:3]
	buffer_load_dwordx2 v[18:19], v18, s[8:11], s13 offen
	v_add_lshl_u32 v20, v1, v21, 3
	v_mul_lo_u32 v2, s12, v38
	v_cndmask_b32_e64 v29, -1, v20, s[2:3]
	v_add_lshl_u32 v20, v1, v22, 3
	v_cndmask_b32_e64 v30, -1, v20, s[2:3]
	v_add_u32_e32 v20, 0x5b, v58
	v_mul_lo_u32 v31, s12, v20
	v_add_u32_e32 v20, 0xc3, v58
	v_mul_lo_u32 v32, s12, v20
	v_add_lshl_u32 v2, v1, v2, 3
	v_cndmask_b32_e64 v2, -1, v2, s[2:3]
	v_add_u32_e32 v39, 0x4e, v58
	buffer_load_dwordx2 v[20:21], v2, s[8:11], s13 offen
	buffer_load_dwordx2 v[22:23], v28, s[8:11], s13 offen
	buffer_load_dwordx2 v[24:25], v29, s[8:11], s13 offen
	buffer_load_dwordx2 v[26:27], v30, s[8:11], s13 offen
	v_add_lshl_u32 v2, v1, v31, 3
	v_mul_lo_u32 v30, s12, v39
	v_add_u32_e32 v31, 0xb6, v58
	v_add_lshl_u32 v28, v1, v32, 3
	v_mul_lo_u32 v32, s12, v31
	v_cndmask_b32_e64 v2, -1, v2, s[2:3]
	v_cndmask_b32_e64 v28, -1, v28, s[2:3]
	v_add_lshl_u32 v30, v1, v30, 3
	buffer_load_dwordx2 v[28:29], v28, s[8:11], s13 offen
	v_cndmask_b32_e64 v40, -1, v30, s[2:3]
	buffer_load_dwordx2 v[30:31], v2, s[8:11], s13 offen
	v_add_lshl_u32 v2, v1, v32, 3
	v_cndmask_b32_e64 v2, -1, v2, s[2:3]
	buffer_load_dwordx2 v[32:33], v40, s[8:11], s13 offen
	buffer_load_dwordx2 v[34:35], v2, s[8:11], s13 offen
	v_mul_u32_u24_e32 v40, 0x130, v58
	v_lshlrev_b32_e32 v2, 3, v37
	v_add3_u32 v37, 0, v40, v2
	v_add_u32_e32 v40, 0xc00, v37
	s_movk_i32 s6, 0x5ca0
	s_waitcnt vmcnt(9)
	v_sub_f32_e32 v4, v16, v4
	v_sub_f32_e32 v5, v17, v5
	v_fma_f32 v16, v16, 2.0, -v4
	v_fma_f32 v17, v17, 2.0, -v5
	ds_write2_b64 v40, v[16:17], v[4:5] offset0:110 offset1:129
	v_sub_f32_e32 v4, v6, v8
	v_sub_f32_e32 v5, v7, v9
	v_fma_f32 v6, v6, 2.0, -v4
	v_fma_f32 v7, v7, 2.0, -v5
	v_add_u32_e32 v8, 0x1800, v37
	ds_write2_b64 v8, v[6:7], v[4:5] offset0:220 offset1:239
	v_sub_f32_e32 v4, v10, v12
	v_sub_f32_e32 v5, v11, v13
	v_fma_f32 v6, v10, 2.0, -v4
	v_fma_f32 v7, v11, 2.0, -v5
	v_add_u32_e32 v8, 0x2800, v37
	ds_write2_b64 v8, v[6:7], v[4:5] offset0:202 offset1:221
	s_waitcnt vmcnt(8)
	v_sub_f32_e32 v4, v14, v18
	v_sub_f32_e32 v5, v15, v19
	v_fma_f32 v6, v14, 2.0, -v4
	v_fma_f32 v7, v15, 2.0, -v5
	ds_write2_b64 v37, v[6:7], v[4:5] offset1:19
	s_waitcnt vmcnt(6)
	v_sub_f32_e32 v6, v20, v22
	v_sub_f32_e32 v7, v21, v23
	v_fma_f32 v4, v20, 2.0, -v6
	v_fma_f32 v5, v21, 2.0, -v7
	ds_write_b64 v37, v[4:5] offset:15808
	v_add_u32_e32 v4, 0x3c00, v37
	ds_write2_b32 v4, v6, v7 offset0:150 offset1:151
	s_waitcnt vmcnt(4)
	v_sub_f32_e32 v4, v24, v26
	v_sub_f32_e32 v5, v25, v27
	v_fma_f32 v6, v24, 2.0, -v4
	v_fma_f32 v7, v25, 2.0, -v5
	v_add_u32_e32 v8, 0x4800, v37
	ds_write2_b64 v8, v[6:7], v[4:5] offset0:166 offset1:185
	s_waitcnt vmcnt(0)
	v_sub_f32_e32 v8, v32, v34
	v_sub_f32_e32 v9, v33, v35
	;; [unrolled: 1-line block ×4, first 2 shown]
	v_fma_f32 v10, v32, 2.0, -v8
	v_fma_f32 v11, v33, 2.0, -v9
	v_add_u32_e32 v12, 0x5c00, v37
	v_fma_f32 v6, v30, 2.0, -v4
	v_fma_f32 v7, v31, 2.0, -v5
	ds_write2_b32 v12, v10, v11 offset0:40 offset1:41
	ds_write2_b32 v12, v8, v9 offset0:78 offset1:79
	v_add_u32_e32 v8, 0x6800, v37
	ds_write2_b64 v8, v[6:7], v[4:5] offset0:130 offset1:149
	v_bfe_u32 v4, v36, 16, 1
	v_mul_u32_u24_e32 v4, 7, v4
	v_lshlrev_b32_e32 v12, 3, v4
	s_waitcnt lgkmcnt(0)
	s_barrier
	global_load_dwordx4 v[4:7], v12, s[16:17] offset:16
	v_and_b32_e32 v40, 1, v56
	v_mul_u32_u24_e32 v8, 7, v40
	v_lshlrev_b32_e32 v41, 3, v8
	global_load_dwordx4 v[8:11], v41, s[16:17] offset:16
	global_load_dwordx4 v[13:16], v12, s[16:17] offset:32
	;; [unrolled: 1-line block ×3, first 2 shown]
	global_load_dwordx2 v[33:34], v12, s[16:17] offset:48
	global_load_dwordx4 v[21:24], v12, s[16:17]
	global_load_dwordx4 v[25:28], v41, s[16:17]
	v_mul_i32_i24_e32 v12, 0xffffff68, v39
	v_add3_u32 v39, v37, s6, v12
	v_mul_u32_u24_e32 v12, 0x98, v58
	v_add3_u32 v12, 0, v12, v2
	ds_read_b64 v[35:36], v39
	v_add_u32_e32 v29, 0x3600, v12
	ds_read2_b64 v[29:32], v29 offset0:1 offset1:248
	s_movk_i32 s6, 0x3dc0
	s_waitcnt vmcnt(6) lgkmcnt(1)
	v_mul_f32_e32 v42, v5, v36
	v_mul_f32_e32 v5, v5, v35
	v_fmac_f32_e32 v42, v4, v35
	v_fma_f32 v35, v4, v36, -v5
	s_waitcnt lgkmcnt(0)
	v_mul_f32_e32 v36, v32, v7
	v_mul_f32_e32 v4, v31, v7
	v_fmac_f32_e32 v36, v31, v6
	v_fma_f32 v31, v32, v6, -v4
	v_add_u32_e32 v4, 0x4540, v12
	ds_read2_b64 v[4:7], v4 offset0:7 offset1:254
	s_waitcnt vmcnt(5)
	v_mul_f32_e32 v32, v30, v9
	v_mul_f32_e32 v9, v29, v9
	v_fmac_f32_e32 v32, v29, v8
	v_fma_f32 v29, v30, v8, -v9
	s_waitcnt lgkmcnt(0)
	v_mul_f32_e32 v30, v5, v11
	v_fmac_f32_e32 v30, v4, v10
	v_mul_f32_e32 v4, v4, v11
	v_fma_f32 v43, v5, v10, -v4
	v_add_u32_e32 v4, 0x54c0, v12
	ds_read2_b64 v[8:11], v4 offset0:5 offset1:252
	s_waitcnt vmcnt(4)
	v_mul_f32_e32 v44, v7, v14
	v_mul_f32_e32 v4, v6, v14
	v_fmac_f32_e32 v44, v6, v13
	v_fma_f32 v13, v7, v13, -v4
	s_waitcnt lgkmcnt(0)
	v_mul_f32_e32 v14, v11, v16
	v_mul_f32_e32 v4, v10, v16
	v_fmac_f32_e32 v14, v10, v15
	v_fma_f32 v15, v11, v15, -v4
	global_load_dwordx2 v[10:11], v41, s[16:17] offset:48
	v_add_u32_e32 v4, 0x6440, v12
	ds_read2_b64 v[4:7], v4 offset0:3 offset1:250
	s_waitcnt vmcnt(4)
	v_mul_f32_e32 v41, v9, v18
	v_fmac_f32_e32 v41, v8, v17
	v_mul_f32_e32 v8, v8, v18
	v_fma_f32 v45, v9, v17, -v8
	s_waitcnt lgkmcnt(0)
	v_mul_f32_e32 v46, v5, v20
	v_fmac_f32_e32 v46, v4, v19
	v_mul_f32_e32 v4, v4, v20
	v_fma_f32 v47, v5, v19, -v4
	v_mul_i32_i24_e32 v4, 0xffffff68, v38
	v_add3_u32 v4, v37, s6, v4
	ds_read_b64 v[8:9], v4
	s_waitcnt vmcnt(3)
	v_mul_f32_e32 v4, v6, v34
	v_mul_f32_e32 v16, v7, v34
	v_fma_f32 v17, v7, v33, -v4
	v_add_u32_e32 v4, 0xf40, v12
	v_fmac_f32_e32 v16, v6, v33
	ds_read2_b64 v[4:7], v4 offset0:6 offset1:253
	s_waitcnt vmcnt(2) lgkmcnt(1)
	v_mul_f32_e32 v18, v24, v9
	v_fmac_f32_e32 v18, v23, v8
	v_mul_f32_e32 v8, v24, v8
	v_fma_f32 v19, v23, v9, -v8
	s_waitcnt lgkmcnt(0)
	v_mul_f32_e32 v20, v22, v5
	v_fmac_f32_e32 v20, v21, v4
	v_mul_f32_e32 v4, v22, v4
	s_waitcnt vmcnt(1)
	v_mul_f32_e32 v33, v7, v26
	v_fma_f32 v21, v21, v5, -v4
	v_fmac_f32_e32 v33, v6, v25
	ds_read_b64 v[4:5], v12 offset:9880
	v_mul_f32_e32 v6, v6, v26
	v_fma_f32 v25, v7, v25, -v6
	ds_read_b64 v[6:7], v12 offset:29640
	ds_read_b64 v[8:9], v12
	v_sub_f32_e32 v14, v18, v14
	s_waitcnt lgkmcnt(2)
	v_mul_f32_e32 v26, v5, v28
	v_fmac_f32_e32 v26, v4, v27
	v_mul_f32_e32 v4, v4, v28
	s_waitcnt lgkmcnt(0)
	v_sub_f32_e32 v22, v8, v36
	v_fma_f32 v27, v5, v27, -v4
	v_sub_f32_e32 v23, v9, v31
	v_fma_f32 v4, v8, 2.0, -v22
	v_sub_f32_e32 v15, v19, v15
	v_fma_f32 v8, v18, 2.0, -v14
	v_sub_f32_e32 v18, v20, v44
	v_sub_f32_e32 v13, v21, v13
	;; [unrolled: 1-line block ×3, first 2 shown]
	v_fma_f32 v5, v9, 2.0, -v23
	v_fma_f32 v9, v19, 2.0, -v15
	;; [unrolled: 1-line block ×4, first 2 shown]
	v_sub_f32_e32 v17, v35, v17
	v_fma_f32 v21, v42, 2.0, -v16
	v_fma_f32 v24, v35, 2.0, -v17
	v_sub_f32_e32 v28, v4, v8
	v_sub_f32_e32 v21, v19, v21
	v_add_f32_e32 v34, v22, v15
	v_sub_f32_e32 v35, v23, v14
	v_fma_f32 v8, v4, 2.0, -v28
	v_fma_f32 v4, v19, 2.0, -v21
	;; [unrolled: 1-line block ×4, first 2 shown]
	v_add_f32_e32 v23, v18, v17
	v_sub_f32_e32 v36, v13, v16
	v_sub_f32_e32 v31, v5, v9
	;; [unrolled: 1-line block ×3, first 2 shown]
	v_fma_f32 v17, v18, 2.0, -v23
	v_fma_f32 v13, v13, 2.0, -v36
	v_mov_b32_e32 v15, v14
	v_mov_b32_e32 v16, v19
	v_lshl_or_b32 v22, v58, 3, v58
	v_fma_f32 v9, v5, 2.0, -v31
	v_fma_f32 v5, v20, 2.0, -v24
	v_fmac_f32_e32 v15, 0xbf3504f3, v17
	v_fmac_f32_e32 v16, 0xbf3504f3, v13
	v_and_b32_e32 v22, 0x71, v22
	v_sub_f32_e32 v4, v8, v4
	v_sub_f32_e32 v5, v9, v5
	v_fmac_f32_e32 v15, 0x3f3504f3, v13
	v_fmac_f32_e32 v16, 0xbf3504f3, v17
	v_mul_u32_u24_e32 v22, 0x98, v22
	v_fma_f32 v8, v8, 2.0, -v4
	v_fma_f32 v9, v9, 2.0, -v5
	;; [unrolled: 1-line block ×4, first 2 shown]
	v_add_u32_e32 v14, 0xffffd968, v39
	v_add3_u32 v38, 0, v22, v2
	ds_read_b32 v13, v14
	ds_read_b32 v37, v14 offset:4
	ds_read_b64 v[19:20], v14
	s_waitcnt vmcnt(0) lgkmcnt(0)
	s_barrier
	ds_write2_b64 v38, v[8:9], v[17:18] offset1:38
	v_sub_f32_e32 v9, v31, v21
	v_mov_b32_e32 v21, v34
	v_mov_b32_e32 v22, v35
	v_fmac_f32_e32 v21, 0x3f3504f3, v23
	v_fmac_f32_e32 v22, 0x3f3504f3, v36
	v_add_f32_e32 v8, v28, v24
	v_fmac_f32_e32 v21, 0x3f3504f3, v36
	v_fmac_f32_e32 v22, 0xbf3504f3, v23
	v_fma_f32 v17, v28, 2.0, -v8
	v_fma_f32 v18, v31, 2.0, -v9
	v_fma_f32 v23, v34, 2.0, -v21
	v_fma_f32 v24, v35, 2.0, -v22
	ds_write2_b64 v38, v[17:18], v[23:24] offset0:76 offset1:114
	ds_write2_b64 v38, v[4:5], v[15:16] offset0:152 offset1:190
	v_add_u32_e32 v4, 0x400, v38
	ds_write2_b64 v4, v[8:9], v[21:22] offset0:100 offset1:138
	v_mul_f32_e32 v4, v7, v11
	v_mul_f32_e32 v5, v6, v11
	v_fmac_f32_e32 v4, v6, v10
	v_fma_f32 v5, v7, v10, -v5
	v_sub_f32_e32 v10, v19, v30
	v_sub_f32_e32 v11, v20, v43
	v_fma_f32 v6, v13, 2.0, -v10
	v_sub_f32_e32 v13, v26, v46
	v_sub_f32_e32 v15, v27, v47
	;; [unrolled: 1-line block ×6, first 2 shown]
	v_fma_f32 v7, v37, 2.0, -v11
	v_fma_f32 v8, v26, 2.0, -v13
	;; [unrolled: 1-line block ×7, first 2 shown]
	v_sub_f32_e32 v22, v6, v8
	v_sub_f32_e32 v23, v7, v9
	;; [unrolled: 1-line block ×5, first 2 shown]
	v_fma_f32 v8, v6, 2.0, -v22
	v_fma_f32 v9, v7, 2.0, -v23
	;; [unrolled: 1-line block ×4, first 2 shown]
	v_add_f32_e32 v18, v10, v15
	v_fma_f32 v11, v11, 2.0, -v13
	v_add_f32_e32 v19, v16, v5
	v_sub_f32_e32 v24, v17, v4
	v_fma_f32 v10, v10, 2.0, -v18
	v_fma_f32 v15, v16, 2.0, -v19
	;; [unrolled: 1-line block ×3, first 2 shown]
	v_mov_b32_e32 v5, v11
	v_mov_b32_e32 v4, v10
	v_fmac_f32_e32 v5, 0xbf3504f3, v16
	v_fmac_f32_e32 v4, 0xbf3504f3, v15
	;; [unrolled: 1-line block ×3, first 2 shown]
	s_movk_i32 s6, 0xf0
	v_lshlrev_b32_e32 v15, 3, v56
	v_and_or_b32 v15, v15, s6, v40
	v_sub_f32_e32 v6, v8, v6
	v_sub_f32_e32 v7, v9, v7
	v_fmac_f32_e32 v4, 0x3f3504f3, v16
	v_mul_u32_u24_e32 v15, 0x98, v15
	v_fma_f32 v8, v8, 2.0, -v6
	v_fma_f32 v9, v9, 2.0, -v7
	;; [unrolled: 1-line block ×4, first 2 shown]
	v_add3_u32 v2, 0, v15, v2
	ds_write2_b64 v2, v[8:9], v[10:11] offset1:38
	v_mov_b32_e32 v8, v18
	v_mov_b32_e32 v9, v13
	v_fmac_f32_e32 v8, 0x3f3504f3, v19
	v_fmac_f32_e32 v9, 0x3f3504f3, v24
	v_add_f32_e32 v10, v22, v21
	v_sub_f32_e32 v11, v23, v20
	v_fmac_f32_e32 v8, 0x3f3504f3, v24
	v_fmac_f32_e32 v9, 0xbf3504f3, v19
	v_fma_f32 v15, v22, 2.0, -v10
	v_fma_f32 v16, v23, 2.0, -v11
	;; [unrolled: 1-line block ×4, first 2 shown]
	ds_write2_b64 v2, v[15:16], v[17:18] offset0:76 offset1:114
	ds_write2_b64 v2, v[6:7], v[4:5] offset0:152 offset1:190
	v_add_u32_e32 v2, 0x400, v2
	ds_write2_b64 v2, v[10:11], v[8:9] offset0:100 offset1:138
	s_waitcnt lgkmcnt(0)
	s_barrier
	ds_read_b64 v[6:7], v12
	ds_read_b64 v[54:55], v12 offset:2432
	ds_read_b64 v[52:53], v12 offset:4864
	;; [unrolled: 1-line block ×12, first 2 shown]
	v_cmp_gt_u32_e64 s[6:7], 57, v0
                                        ; implicit-def: $vgpr21
                                        ; implicit-def: $vgpr23
                                        ; implicit-def: $vgpr25
                                        ; implicit-def: $vgpr27
                                        ; implicit-def: $vgpr13
                                        ; implicit-def: $vgpr15
                                        ; implicit-def: $vgpr17
                                        ; implicit-def: $vgpr19
                                        ; implicit-def: $vgpr29
                                        ; implicit-def: $vgpr31
	s_and_saveexec_b64 s[14:15], s[6:7]
	s_cbranch_execz .LBB0_8
; %bb.7:
	ds_read2_b32 v[4:5], v14 offset1:1
	ds_read_b64 v[10:11], v12 offset:4408
	ds_read_b64 v[8:9], v12 offset:6840
	;; [unrolled: 1-line block ×12, first 2 shown]
.LBB0_8:
	s_or_b64 exec, exec, s[14:15]
	v_mul_u32_u24_e32 v2, 12, v58
	v_lshlrev_b32_e32 v2, 3, v2
	global_load_dwordx4 v[59:62], v2, s[16:17] offset:160
	global_load_dwordx4 v[63:66], v2, s[16:17] offset:144
	;; [unrolled: 1-line block ×4, first 2 shown]
	s_mov_b32 s14, 0x3f62ad3f
	s_mov_b32 s7, 0x3f116cb1
	;; [unrolled: 1-line block ×4, first 2 shown]
	s_load_dwordx2 s[4:5], s[4:5], 0x8
	s_waitcnt vmcnt(1) lgkmcnt(0)
	v_mul_f32_e32 v76, v70, v49
	s_waitcnt vmcnt(0)
	v_mul_f32_e32 v75, v72, v55
	v_fmac_f32_e32 v75, v71, v54
	v_mul_f32_e32 v54, v72, v54
	v_mul_f32_e32 v72, v74, v53
	v_fmac_f32_e32 v76, v69, v48
	v_mul_f32_e32 v48, v70, v48
	v_fmac_f32_e32 v72, v73, v52
	v_mul_f32_e32 v52, v74, v52
	v_mul_f32_e32 v74, v68, v51
	v_fma_f32 v69, v69, v49, -v48
	v_mul_f32_e32 v49, v64, v47
	v_fmac_f32_e32 v74, v67, v50
	v_mul_f32_e32 v50, v68, v50
	v_fmac_f32_e32 v49, v63, v46
	v_mul_f32_e32 v46, v64, v46
	v_fma_f32 v71, v71, v55, -v54
	v_fma_f32 v68, v67, v51, -v50
	;; [unrolled: 1-line block ×3, first 2 shown]
	v_mul_f32_e32 v47, v60, v43
	v_mul_f32_e32 v55, v62, v41
	v_fmac_f32_e32 v47, v59, v42
	v_mul_f32_e32 v42, v60, v42
	v_fmac_f32_e32 v55, v61, v40
	v_mul_f32_e32 v40, v62, v40
	v_fma_f32 v48, v59, v43, -v42
	v_fma_f32 v59, v61, v41, -v40
	global_load_dwordx4 v[40:43], v2, s[16:17] offset:192
	global_load_dwordx4 v[60:63], v2, s[16:17] offset:176
	v_mul_f32_e32 v46, v66, v45
	v_fmac_f32_e32 v46, v65, v44
	v_mul_f32_e32 v44, v66, v44
	v_fma_f32 v44, v65, v45, -v44
	v_fma_f32 v73, v73, v53, -v52
	s_waitcnt vmcnt(1)
	v_mul_f32_e32 v82, v33, v43
	s_waitcnt vmcnt(0)
	v_mul_f32_e32 v2, v38, v61
	v_fma_f32 v77, v39, v60, -v2
	v_mul_f32_e32 v2, v36, v63
	v_fma_f32 v79, v37, v62, -v2
	;; [unrolled: 2-line block ×3, first 2 shown]
	v_mul_f32_e32 v2, v32, v43
	v_fmac_f32_e32 v82, v32, v42
	v_fma_f32 v32, v33, v42, -v2
	v_and_b32_e32 v2, 15, v56
	v_mul_u32_u24_e32 v33, 12, v2
	v_mul_f32_e32 v70, v39, v61
	v_mul_f32_e32 v78, v37, v63
	;; [unrolled: 1-line block ×3, first 2 shown]
	v_lshlrev_b32_e32 v33, 3, v33
	v_fmac_f32_e32 v70, v38, v60
	v_fmac_f32_e32 v78, v36, v62
	;; [unrolled: 1-line block ×3, first 2 shown]
	global_load_dwordx4 v[60:63], v33, s[16:17] offset:160
	global_load_dwordx4 v[64:67], v33, s[16:17] offset:144
	;; [unrolled: 1-line block ×4, first 2 shown]
	s_waitcnt vmcnt(1)
	v_mul_f32_e32 v39, v21, v35
	s_waitcnt vmcnt(0)
	v_mul_f32_e32 v50, v11, v41
	v_fmac_f32_e32 v50, v10, v40
	v_mul_f32_e32 v10, v10, v41
	v_mul_f32_e32 v41, v9, v43
	v_fmac_f32_e32 v41, v8, v42
	v_mul_f32_e32 v8, v8, v43
	v_fma_f32 v42, v9, v42, -v8
	v_mul_f32_e32 v8, v20, v35
	v_fma_f32 v52, v11, v40, -v10
	v_fma_f32 v40, v21, v34, -v8
	v_mul_f32_e32 v35, v23, v37
	v_mul_f32_e32 v8, v22, v37
	v_fmac_f32_e32 v35, v22, v36
	v_fma_f32 v36, v23, v36, -v8
	v_mul_f32_e32 v8, v24, v65
	v_fmac_f32_e32 v39, v20, v34
	v_mul_f32_e32 v34, v25, v65
	v_fma_f32 v25, v25, v64, -v8
	v_mul_f32_e32 v8, v26, v67
	v_mul_f32_e32 v21, v27, v67
	v_fma_f32 v22, v27, v66, -v8
	v_mul_f32_e32 v8, v30, v61
	v_fmac_f32_e32 v34, v24, v64
	v_fmac_f32_e32 v21, v26, v66
	v_mul_f32_e32 v23, v31, v61
	v_fma_f32 v24, v31, v60, -v8
	v_mul_f32_e32 v26, v29, v63
	v_mul_f32_e32 v8, v28, v63
	v_fmac_f32_e32 v23, v30, v60
	v_fmac_f32_e32 v26, v28, v62
	v_fma_f32 v27, v29, v62, -v8
	global_load_dwordx4 v[8:11], v33, s[16:17] offset:192
	global_load_dwordx4 v[28:31], v33, s[16:17] offset:176
	s_mov_b32 s16, 0xbf3f9e67
	s_mov_b32 s17, 0xbf788fa5
	s_waitcnt vmcnt(1)
	v_mul_f32_e32 v53, v15, v9
	v_mul_f32_e32 v9, v14, v9
	v_fmac_f32_e32 v53, v14, v8
	v_fma_f32 v54, v15, v8, -v9
	v_mul_f32_e32 v8, v12, v11
	v_add_f32_e32 v9, v71, v7
	v_fma_f32 v64, v13, v10, -v8
	v_add_f32_e32 v8, v75, v6
	v_add_f32_e32 v9, v9, v73
	;; [unrolled: 1-line block ×16, first 2 shown]
	s_waitcnt vmcnt(0)
	v_mul_f32_e32 v43, v17, v31
	v_add_f32_e32 v8, v8, v70
	v_add_f32_e32 v9, v9, v79
	v_mul_f32_e32 v37, v19, v29
	v_fmac_f32_e32 v43, v16, v30
	v_mul_f32_e32 v16, v16, v31
	v_mul_f32_e32 v63, v13, v11
	v_add_f32_e32 v8, v8, v78
	v_add_f32_e32 v9, v9, v81
	v_sub_f32_e32 v11, v71, v32
	v_fmac_f32_e32 v37, v18, v28
	v_mul_f32_e32 v18, v18, v29
	v_fma_f32 v45, v17, v30, -v16
	v_fmac_f32_e32 v63, v12, v10
	v_add_f32_e32 v8, v8, v80
	v_add_f32_e32 v29, v9, v32
	v_add_f32_e32 v9, v71, v32
	v_mul_f32_e32 v12, 0xbeedf032, v11
	v_mul_f32_e32 v16, 0xbf52af12, v11
	;; [unrolled: 1-line block ×6, first 2 shown]
	v_fma_f32 v38, v19, v28, -v18
	v_add_f32_e32 v28, v8, v82
	v_add_f32_e32 v8, v75, v82
	v_sub_f32_e32 v10, v75, v82
	v_mul_f32_e32 v14, 0x3f62ad3f, v9
	v_mul_f32_e32 v18, 0x3f116cb1, v9
	;; [unrolled: 1-line block ×5, first 2 shown]
	v_mov_b32_e32 v75, v11
	v_mul_f32_e32 v9, 0xbf788fa5, v9
	v_fma_f32 v13, v8, s14, -v12
	v_fmac_f32_e32 v12, 0x3f62ad3f, v8
	v_mov_b32_e32 v15, v14
	v_fma_f32 v17, v8, s7, -v16
	v_fmac_f32_e32 v16, 0x3f116cb1, v8
	v_mov_b32_e32 v19, v18
	;; [unrolled: 3-line block ×5, first 2 shown]
	v_fmac_f32_e32 v75, 0xbf788fa5, v8
	v_mov_b32_e32 v82, v9
	v_fma_f32 v8, v8, s17, -v11
	v_sub_f32_e32 v11, v73, v81
	v_add_f32_e32 v12, v12, v6
	v_fmac_f32_e32 v15, 0x3eedf032, v10
	v_add_f32_e32 v13, v13, v6
	v_fmac_f32_e32 v14, 0xbeedf032, v10
	;; [unrolled: 2-line block ×12, first 2 shown]
	v_add_f32_e32 v8, v72, v80
	v_sub_f32_e32 v10, v72, v80
	v_mul_f32_e32 v72, 0xbf52af12, v11
	v_add_f32_e32 v15, v15, v7
	v_add_f32_e32 v14, v14, v7
	;; [unrolled: 1-line block ×13, first 2 shown]
	v_fma_f32 v73, v8, s7, -v72
	v_fmac_f32_e32 v72, 0x3f116cb1, v8
	v_add_f32_e32 v12, v72, v12
	v_mul_f32_e32 v72, 0x3f116cb1, v9
	v_mov_b32_e32 v80, v72
	v_fmac_f32_e32 v72, 0xbf52af12, v10
	v_add_f32_e32 v14, v72, v14
	v_mul_f32_e32 v72, 0xbf6f5d39, v11
	v_add_f32_e32 v13, v73, v13
	v_fma_f32 v73, v8, s15, -v72
	v_fmac_f32_e32 v72, 0xbeb58ec6, v8
	v_fmac_f32_e32 v80, 0x3f52af12, v10
	v_add_f32_e32 v16, v72, v16
	v_mul_f32_e32 v72, 0xbeb58ec6, v9
	v_add_f32_e32 v15, v80, v15
	v_mov_b32_e32 v80, v72
	v_fmac_f32_e32 v72, 0xbf6f5d39, v10
	v_add_f32_e32 v18, v72, v18
	v_mul_f32_e32 v72, 0xbe750f2a, v11
	v_add_f32_e32 v17, v73, v17
	v_fma_f32 v73, v8, s17, -v72
	v_fmac_f32_e32 v72, 0xbf788fa5, v8
	v_fmac_f32_e32 v80, 0x3f6f5d39, v10
	v_add_f32_e32 v20, v72, v20
	v_mul_f32_e32 v72, 0xbf788fa5, v9
	v_add_f32_e32 v19, v80, v19
	;; [unrolled: 11-line block ×4, first 2 shown]
	v_mov_b32_e32 v80, v72
	v_fmac_f32_e32 v72, 0x3f7e222b, v10
	v_mul_f32_e32 v11, 0x3eedf032, v11
	v_add_f32_e32 v67, v72, v67
	v_mov_b32_e32 v72, v11
	v_mul_f32_e32 v9, 0x3f62ad3f, v9
	v_add_f32_e32 v66, v73, v66
	v_fmac_f32_e32 v72, 0x3f62ad3f, v8
	v_mov_b32_e32 v73, v9
	v_fma_f32 v8, v8, s14, -v11
	v_fmac_f32_e32 v9, 0x3eedf032, v10
	v_sub_f32_e32 v11, v68, v79
	v_add_f32_e32 v6, v8, v6
	v_add_f32_e32 v7, v9, v7
	;; [unrolled: 1-line block ×4, first 2 shown]
	v_mul_f32_e32 v68, 0xbf7e222b, v11
	v_fmac_f32_e32 v80, 0xbf7e222b, v10
	v_fmac_f32_e32 v73, 0xbeedf032, v10
	v_sub_f32_e32 v10, v74, v78
	v_fma_f32 v74, v8, s6, -v68
	v_fmac_f32_e32 v68, 0x3df6dbef, v8
	v_add_f32_e32 v12, v68, v12
	v_mul_f32_e32 v68, 0x3df6dbef, v9
	v_add_f32_e32 v72, v72, v75
	v_mov_b32_e32 v75, v68
	v_fmac_f32_e32 v68, 0xbf7e222b, v10
	v_add_f32_e32 v14, v68, v14
	v_mul_f32_e32 v68, 0xbe750f2a, v11
	v_add_f32_e32 v13, v74, v13
	v_fma_f32 v74, v8, s17, -v68
	v_fmac_f32_e32 v68, 0xbf788fa5, v8
	v_fmac_f32_e32 v75, 0x3f7e222b, v10
	v_add_f32_e32 v16, v68, v16
	v_mul_f32_e32 v68, 0xbf788fa5, v9
	v_add_f32_e32 v15, v75, v15
	v_mov_b32_e32 v75, v68
	v_fmac_f32_e32 v68, 0xbe750f2a, v10
	v_add_f32_e32 v18, v68, v18
	v_mul_f32_e32 v68, 0x3f6f5d39, v11
	v_add_f32_e32 v17, v74, v17
	v_fma_f32 v74, v8, s15, -v68
	v_fmac_f32_e32 v68, 0xbeb58ec6, v8
	;; [unrolled: 11-line block ×4, first 2 shown]
	v_fmac_f32_e32 v75, 0xbeedf032, v10
	v_add_f32_e32 v65, v68, v65
	v_mul_f32_e32 v68, 0x3f116cb1, v9
	v_add_f32_e32 v62, v75, v62
	v_mov_b32_e32 v75, v68
	v_fmac_f32_e32 v68, 0xbf52af12, v10
	v_mul_f32_e32 v11, 0xbf29c268, v11
	v_add_f32_e32 v67, v68, v67
	v_mov_b32_e32 v68, v11
	v_fmac_f32_e32 v68, 0xbf3f9e67, v8
	v_mul_f32_e32 v9, 0xbf3f9e67, v9
	v_add_f32_e32 v68, v68, v72
	v_mov_b32_e32 v72, v9
	v_fma_f32 v8, v8, s16, -v11
	v_fmac_f32_e32 v9, 0xbf29c268, v10
	v_sub_f32_e32 v11, v69, v77
	v_add_f32_e32 v6, v8, v6
	v_add_f32_e32 v7, v9, v7
	;; [unrolled: 1-line block ×4, first 2 shown]
	v_mul_f32_e32 v69, 0xbf6f5d39, v11
	v_fmac_f32_e32 v75, 0x3f52af12, v10
	v_fmac_f32_e32 v72, 0x3f29c268, v10
	v_sub_f32_e32 v10, v76, v70
	v_fma_f32 v70, v8, s15, -v69
	v_fmac_f32_e32 v69, 0xbeb58ec6, v8
	v_add_f32_e32 v73, v73, v82
	v_add_f32_e32 v12, v69, v12
	v_mul_f32_e32 v69, 0xbeb58ec6, v9
	v_add_f32_e32 v72, v72, v73
	v_mov_b32_e32 v73, v69
	v_fmac_f32_e32 v69, 0xbf6f5d39, v10
	v_add_f32_e32 v14, v69, v14
	v_mul_f32_e32 v69, 0x3f29c268, v11
	v_add_f32_e32 v13, v70, v13
	v_fma_f32 v70, v8, s16, -v69
	v_fmac_f32_e32 v69, 0xbf3f9e67, v8
	v_fmac_f32_e32 v73, 0x3f6f5d39, v10
	v_add_f32_e32 v16, v69, v16
	v_mul_f32_e32 v69, 0xbf3f9e67, v9
	v_add_f32_e32 v15, v73, v15
	v_mov_b32_e32 v73, v69
	v_fmac_f32_e32 v69, 0x3f29c268, v10
	v_add_f32_e32 v18, v69, v18
	v_mul_f32_e32 v69, 0x3eedf032, v11
	v_add_f32_e32 v17, v70, v17
	v_fma_f32 v70, v8, s14, -v69
	v_fmac_f32_e32 v69, 0x3f62ad3f, v8
	v_fmac_f32_e32 v73, 0xbf29c268, v10
	;; [unrolled: 11-line block ×4, first 2 shown]
	v_add_f32_e32 v65, v69, v65
	v_mul_f32_e32 v69, 0xbf788fa5, v9
	v_add_f32_e32 v62, v73, v62
	v_mov_b32_e32 v73, v69
	v_fmac_f32_e32 v69, 0x3e750f2a, v10
	v_mul_f32_e32 v11, 0x3f52af12, v11
	v_add_f32_e32 v67, v69, v67
	v_mov_b32_e32 v69, v11
	v_fmac_f32_e32 v69, 0x3f116cb1, v8
	v_mul_f32_e32 v9, 0x3f116cb1, v9
	v_add_f32_e32 v68, v69, v68
	v_mov_b32_e32 v69, v9
	v_fma_f32 v8, v8, s7, -v11
	v_sub_f32_e32 v11, v51, v59
	v_fmac_f32_e32 v73, 0xbe750f2a, v10
	v_fmac_f32_e32 v69, 0xbf52af12, v10
	v_add_f32_e32 v6, v8, v6
	v_fmac_f32_e32 v9, 0x3f52af12, v10
	v_add_f32_e32 v8, v49, v55
	v_sub_f32_e32 v10, v49, v55
	v_mul_f32_e32 v49, 0xbf29c268, v11
	v_add_f32_e32 v7, v9, v7
	v_add_f32_e32 v9, v51, v59
	v_fma_f32 v51, v8, s16, -v49
	v_fmac_f32_e32 v49, 0xbf3f9e67, v8
	v_add_f32_e32 v12, v49, v12
	v_mul_f32_e32 v49, 0xbf3f9e67, v9
	v_mov_b32_e32 v55, v49
	v_fmac_f32_e32 v49, 0xbf29c268, v10
	v_add_f32_e32 v14, v49, v14
	v_mul_f32_e32 v49, 0x3f7e222b, v11
	v_add_f32_e32 v13, v51, v13
	v_fma_f32 v51, v8, s6, -v49
	v_fmac_f32_e32 v49, 0x3df6dbef, v8
	v_fmac_f32_e32 v55, 0x3f29c268, v10
	v_add_f32_e32 v16, v49, v16
	v_mul_f32_e32 v49, 0x3df6dbef, v9
	v_add_f32_e32 v15, v55, v15
	v_mov_b32_e32 v55, v49
	v_fmac_f32_e32 v55, 0xbf7e222b, v10
	v_add_f32_e32 v19, v55, v19
	v_add_f32_e32 v55, v51, v17
	v_fmac_f32_e32 v49, 0x3f7e222b, v10
	v_mul_f32_e32 v17, 0xbf52af12, v11
	v_add_f32_e32 v59, v49, v18
	v_fma_f32 v18, v8, s7, -v17
	v_fmac_f32_e32 v17, 0x3f116cb1, v8
	v_add_f32_e32 v20, v17, v20
	v_mul_f32_e32 v17, 0x3f116cb1, v9
	v_mov_b32_e32 v49, v17
	v_fmac_f32_e32 v17, 0xbf52af12, v10
	v_add_f32_e32 v66, v74, v66
	v_add_f32_e32 v69, v69, v72
	;; [unrolled: 1-line block ×3, first 2 shown]
	v_mul_f32_e32 v17, 0x3e750f2a, v11
	v_add_f32_e32 v66, v70, v66
	v_add_f32_e32 v70, v18, v30
	v_fma_f32 v18, v8, s17, -v17
	v_fmac_f32_e32 v17, 0xbf788fa5, v8
	v_add_f32_e32 v33, v17, v33
	v_mul_f32_e32 v17, 0xbf788fa5, v9
	v_mov_b32_e32 v30, v17
	v_fmac_f32_e32 v17, 0x3e750f2a, v10
	v_add_f32_e32 v74, v17, v61
	v_mul_f32_e32 v17, 0x3eedf032, v11
	v_add_f32_e32 v71, v80, v71
	v_add_f32_e32 v60, v18, v60
	v_fma_f32 v18, v8, s14, -v17
	v_fmac_f32_e32 v17, 0x3f62ad3f, v8
	v_add_f32_e32 v71, v75, v71
	v_fmac_f32_e32 v30, 0xbe750f2a, v10
	v_add_f32_e32 v65, v17, v65
	v_mul_f32_e32 v17, 0x3f62ad3f, v9
	v_add_f32_e32 v71, v73, v71
	v_add_f32_e32 v73, v30, v62
	v_mov_b32_e32 v30, v17
	v_fmac_f32_e32 v17, 0x3eedf032, v10
	v_mul_f32_e32 v11, 0xbf6f5d39, v11
	v_add_f32_e32 v67, v17, v67
	v_mov_b32_e32 v17, v11
	v_fmac_f32_e32 v17, 0xbeb58ec6, v8
	v_mul_f32_e32 v9, 0xbeb58ec6, v9
	v_fma_f32 v8, v8, s15, -v11
	v_add_f32_e32 v68, v17, v68
	v_mov_b32_e32 v17, v9
	v_add_f32_e32 v8, v8, v6
	v_fmac_f32_e32 v9, 0xbf6f5d39, v10
	v_sub_f32_e32 v6, v44, v48
	v_add_f32_e32 v75, v9, v7
	v_add_f32_e32 v7, v46, v47
	v_mul_f32_e32 v9, 0xbe750f2a, v6
	v_fmac_f32_e32 v49, 0x3f52af12, v10
	v_fmac_f32_e32 v30, 0xbeedf032, v10
	;; [unrolled: 1-line block ×3, first 2 shown]
	v_add_f32_e32 v76, v44, v48
	v_fma_f32 v10, v7, s17, -v9
	v_fmac_f32_e32 v9, 0xbf788fa5, v7
	v_sub_f32_e32 v46, v46, v47
	v_add_f32_e32 v48, v9, v12
	v_mul_f32_e32 v9, 0xbf788fa5, v76
	v_mov_b32_e32 v11, v9
	v_fmac_f32_e32 v9, 0xbe750f2a, v46
	v_add_f32_e32 v66, v18, v66
	v_add_f32_e32 v18, v9, v14
	v_mul_f32_e32 v9, 0x3eedf032, v6
	v_add_f32_e32 v69, v17, v69
	v_add_f32_e32 v17, v10, v13
	v_fma_f32 v10, v7, s14, -v9
	v_fmac_f32_e32 v9, 0x3f62ad3f, v7
	v_add_f32_e32 v71, v30, v71
	v_fmac_f32_e32 v11, 0x3e750f2a, v46
	v_add_f32_e32 v30, v9, v16
	v_mul_f32_e32 v9, 0x3f62ad3f, v76
	v_add_f32_e32 v51, v11, v15
	v_mov_b32_e32 v11, v9
	v_fmac_f32_e32 v9, 0x3eedf032, v46
	v_add_f32_e32 v16, v9, v59
	v_mul_f32_e32 v9, 0xbf29c268, v6
	v_add_f32_e32 v15, v10, v55
	v_fma_f32 v10, v7, s16, -v9
	v_fmac_f32_e32 v9, 0xbf3f9e67, v7
	v_fmac_f32_e32 v11, 0xbeedf032, v46
	v_add_f32_e32 v31, v9, v20
	v_mul_f32_e32 v9, 0xbf3f9e67, v76
	v_add_f32_e32 v32, v49, v32
	v_add_f32_e32 v49, v11, v19
	v_mov_b32_e32 v11, v9
	v_fmac_f32_e32 v9, 0xbf29c268, v46
	v_add_f32_e32 v14, v9, v72
	v_mul_f32_e32 v9, 0x3f52af12, v6
	v_fmac_f32_e32 v11, 0x3f29c268, v46
	v_add_f32_e32 v13, v10, v70
	v_fma_f32 v10, v7, s7, -v9
	v_fmac_f32_e32 v9, 0x3f116cb1, v7
	v_add_f32_e32 v62, v11, v32
	v_add_f32_e32 v32, v9, v33
	v_mul_f32_e32 v9, 0x3f116cb1, v76
	v_mov_b32_e32 v11, v9
	v_fmac_f32_e32 v9, 0x3f52af12, v46
	v_fmac_f32_e32 v11, 0xbf52af12, v46
	v_add_f32_e32 v12, v9, v74
	v_mul_f32_e32 v9, 0xbf6f5d39, v6
	v_add_f32_e32 v61, v11, v73
	v_add_f32_e32 v11, v10, v60
	v_fma_f32 v10, v7, s15, -v9
	v_fmac_f32_e32 v9, 0xbeb58ec6, v7
	v_mul_f32_e32 v19, 0xbeb58ec6, v76
	v_add_f32_e32 v33, v9, v65
	v_mov_b32_e32 v9, v19
	v_fmac_f32_e32 v9, 0x3f6f5d39, v46
	v_fmac_f32_e32 v19, 0xbf6f5d39, v46
	v_add_f32_e32 v59, v9, v71
	v_add_f32_e32 v9, v10, v66
	;; [unrolled: 1-line block ×3, first 2 shown]
	v_mul_f32_e32 v19, 0x3f7e222b, v6
	v_mov_b32_e32 v6, v19
	v_mul_f32_e32 v20, 0x3df6dbef, v76
	v_fmac_f32_e32 v6, 0x3df6dbef, v7
	v_mov_b32_e32 v44, v20
	v_fma_f32 v7, v7, s6, -v19
	v_fmac_f32_e32 v20, 0x3f7e222b, v46
	v_add_f32_e32 v19, v4, v50
	v_add_f32_e32 v7, v7, v8
	;; [unrolled: 1-line block ×21, first 2 shown]
	v_fmac_f32_e32 v44, 0xbf7e222b, v46
	v_add_f32_e32 v20, v20, v45
	v_add_f32_e32 v19, v19, v53
	;; [unrolled: 1-line block ×7, first 2 shown]
	v_sub_f32_e32 v47, v50, v63
	v_sub_f32_e32 v50, v52, v64
	v_mul_f32_e32 v63, 0x3f62ad3f, v46
	v_mul_f32_e32 v67, 0x3f116cb1, v46
	;; [unrolled: 1-line block ×6, first 2 shown]
	v_add_f32_e32 v6, v6, v68
	v_add_f32_e32 v20, v20, v64
	v_mul_f32_e32 v52, 0xbeedf032, v50
	v_mov_b32_e32 v64, v63
	v_mul_f32_e32 v65, 0xbf52af12, v50
	v_mov_b32_e32 v68, v67
	;; [unrolled: 2-line block ×6, first 2 shown]
	v_fmac_f32_e32 v64, 0x3eedf032, v47
	v_fmac_f32_e32 v63, 0xbeedf032, v47
	;; [unrolled: 1-line block ×10, first 2 shown]
	v_mov_b32_e32 v81, v50
	v_fmac_f32_e32 v82, 0x3e750f2a, v47
	v_fmac_f32_e32 v46, 0xbe750f2a, v47
	v_fma_f32 v55, v44, s14, -v52
	v_fmac_f32_e32 v52, 0x3f62ad3f, v44
	v_add_f32_e32 v64, v5, v64
	v_add_f32_e32 v63, v5, v63
	v_fma_f32 v66, v44, s7, -v65
	v_fmac_f32_e32 v65, 0x3f116cb1, v44
	v_add_f32_e32 v68, v5, v68
	v_add_f32_e32 v67, v5, v67
	;; [unrolled: 4-line block ×5, first 2 shown]
	v_fmac_f32_e32 v81, 0xbf788fa5, v44
	v_add_f32_e32 v82, v5, v82
	v_fma_f32 v44, v44, s17, -v50
	v_add_f32_e32 v5, v5, v46
	v_add_f32_e32 v46, v42, v54
	v_sub_f32_e32 v42, v42, v54
	v_add_f32_e32 v52, v4, v52
	v_add_f32_e32 v55, v4, v55
	;; [unrolled: 1-line block ×13, first 2 shown]
	v_mul_f32_e32 v47, 0xbf52af12, v42
	v_fma_f32 v50, v44, s7, -v47
	v_fmac_f32_e32 v47, 0x3f116cb1, v44
	v_sub_f32_e32 v41, v41, v53
	v_add_f32_e32 v47, v47, v52
	v_mul_f32_e32 v52, 0x3f116cb1, v46
	v_mul_f32_e32 v54, 0xbf6f5d39, v42
	v_mov_b32_e32 v53, v52
	v_add_f32_e32 v50, v50, v55
	v_fmac_f32_e32 v52, 0xbf52af12, v41
	v_fma_f32 v55, v44, s15, -v54
	v_fmac_f32_e32 v54, 0xbeb58ec6, v44
	v_fmac_f32_e32 v53, 0x3f52af12, v41
	v_add_f32_e32 v52, v52, v63
	v_add_f32_e32 v54, v54, v65
	v_mul_f32_e32 v63, 0xbeb58ec6, v46
	v_mul_f32_e32 v65, 0xbe750f2a, v42
	v_add_f32_e32 v53, v53, v64
	v_mov_b32_e32 v64, v63
	v_add_f32_e32 v55, v55, v66
	v_fmac_f32_e32 v63, 0xbf6f5d39, v41
	v_fma_f32 v66, v44, s17, -v65
	v_fmac_f32_e32 v65, 0xbf788fa5, v44
	v_fmac_f32_e32 v64, 0x3f6f5d39, v41
	v_add_f32_e32 v63, v63, v67
	v_add_f32_e32 v65, v65, v69
	v_mul_f32_e32 v67, 0xbf788fa5, v46
	v_mul_f32_e32 v69, 0x3f29c268, v42
	v_add_f32_e32 v64, v64, v68
	;; [unrolled: 11-line block ×3, first 2 shown]
	v_mov_b32_e32 v72, v71
	v_add_f32_e32 v70, v70, v74
	v_fmac_f32_e32 v71, 0x3f29c268, v41
	v_fma_f32 v74, v44, s6, -v73
	v_fmac_f32_e32 v73, 0x3df6dbef, v44
	v_mul_f32_e32 v42, 0x3eedf032, v42
	v_fmac_f32_e32 v72, 0xbf29c268, v41
	v_add_f32_e32 v71, v71, v75
	v_add_f32_e32 v73, v73, v77
	v_mul_f32_e32 v75, 0x3df6dbef, v46
	v_mov_b32_e32 v77, v42
	v_mul_f32_e32 v46, 0x3f62ad3f, v46
	v_fma_f32 v42, v44, s14, -v42
	v_add_f32_e32 v72, v72, v76
	v_mov_b32_e32 v76, v75
	v_add_f32_e32 v74, v74, v78
	v_mov_b32_e32 v78, v46
	v_add_f32_e32 v4, v42, v4
	v_add_f32_e32 v42, v40, v45
	v_sub_f32_e32 v40, v40, v45
	v_fmac_f32_e32 v76, 0xbf7e222b, v41
	v_fmac_f32_e32 v75, 0x3f7e222b, v41
	;; [unrolled: 1-line block ×4, first 2 shown]
	v_add_f32_e32 v41, v39, v43
	v_sub_f32_e32 v39, v39, v43
	v_mul_f32_e32 v43, 0xbf7e222b, v40
	v_fmac_f32_e32 v77, 0x3f62ad3f, v44
	v_fma_f32 v44, v41, s6, -v43
	v_fmac_f32_e32 v43, 0x3df6dbef, v41
	v_add_f32_e32 v43, v43, v47
	v_mul_f32_e32 v45, 0x3df6dbef, v42
	v_mul_f32_e32 v47, 0xbe750f2a, v40
	v_add_f32_e32 v5, v46, v5
	v_mov_b32_e32 v46, v45
	v_add_f32_e32 v44, v44, v50
	v_fmac_f32_e32 v45, 0xbf7e222b, v39
	v_fma_f32 v50, v41, s17, -v47
	v_fmac_f32_e32 v47, 0xbf788fa5, v41
	v_fmac_f32_e32 v46, 0x3f7e222b, v39
	v_add_f32_e32 v45, v45, v52
	v_add_f32_e32 v47, v47, v54
	v_mul_f32_e32 v52, 0xbf788fa5, v42
	v_mul_f32_e32 v54, 0x3f6f5d39, v40
	v_add_f32_e32 v46, v46, v53
	v_mov_b32_e32 v53, v52
	v_add_f32_e32 v50, v50, v55
	v_fmac_f32_e32 v52, 0xbe750f2a, v39
	v_fma_f32 v55, v41, s15, -v54
	v_fmac_f32_e32 v54, 0xbeb58ec6, v41
	v_fmac_f32_e32 v53, 0x3e750f2a, v39
	v_add_f32_e32 v52, v52, v63
	;; [unrolled: 11-line block ×3, first 2 shown]
	v_add_f32_e32 v65, v65, v69
	v_mul_f32_e32 v67, 0x3f62ad3f, v42
	v_mul_f32_e32 v69, 0xbf52af12, v40
	v_add_f32_e32 v64, v64, v68
	v_mov_b32_e32 v68, v67
	v_add_f32_e32 v66, v66, v70
	v_fmac_f32_e32 v67, 0x3eedf032, v39
	v_fma_f32 v70, v41, s7, -v69
	v_fmac_f32_e32 v69, 0x3f116cb1, v41
	v_mul_f32_e32 v40, 0xbf29c268, v40
	v_fmac_f32_e32 v68, 0xbeedf032, v39
	v_add_f32_e32 v67, v67, v71
	v_add_f32_e32 v69, v69, v73
	v_mul_f32_e32 v71, 0x3f116cb1, v42
	v_mov_b32_e32 v73, v40
	v_mul_f32_e32 v42, 0xbf3f9e67, v42
	v_fma_f32 v40, v41, s16, -v40
	v_add_f32_e32 v68, v68, v72
	v_mov_b32_e32 v72, v71
	v_add_f32_e32 v70, v70, v74
	v_mov_b32_e32 v74, v42
	v_add_f32_e32 v4, v40, v4
	v_add_f32_e32 v40, v36, v38
	v_sub_f32_e32 v36, v36, v38
	v_fmac_f32_e32 v72, 0x3f52af12, v39
	v_fmac_f32_e32 v71, 0xbf52af12, v39
	;; [unrolled: 1-line block ×4, first 2 shown]
	v_add_f32_e32 v39, v35, v37
	v_sub_f32_e32 v35, v35, v37
	v_mul_f32_e32 v37, 0xbf6f5d39, v36
	v_fma_f32 v38, v39, s15, -v37
	v_fmac_f32_e32 v37, 0xbeb58ec6, v39
	v_fmac_f32_e32 v73, 0xbf3f9e67, v41
	v_add_f32_e32 v37, v37, v43
	v_mul_f32_e32 v41, 0xbeb58ec6, v40
	v_mul_f32_e32 v43, 0x3f29c268, v36
	v_add_f32_e32 v5, v42, v5
	v_mov_b32_e32 v42, v41
	v_add_f32_e32 v38, v38, v44
	v_fmac_f32_e32 v41, 0xbf6f5d39, v35
	v_fma_f32 v44, v39, s16, -v43
	v_fmac_f32_e32 v43, 0xbf3f9e67, v39
	v_fmac_f32_e32 v42, 0x3f6f5d39, v35
	v_add_f32_e32 v41, v41, v45
	v_add_f32_e32 v43, v43, v47
	v_mul_f32_e32 v45, 0xbf3f9e67, v40
	v_mul_f32_e32 v47, 0x3eedf032, v36
	v_add_f32_e32 v42, v42, v46
	v_mov_b32_e32 v46, v45
	v_add_f32_e32 v44, v44, v50
	v_fmac_f32_e32 v45, 0x3f29c268, v35
	v_fma_f32 v50, v39, s14, -v47
	v_fmac_f32_e32 v47, 0x3f62ad3f, v39
	v_fmac_f32_e32 v46, 0xbf29c268, v35
	v_add_f32_e32 v45, v45, v52
	;; [unrolled: 11-line block ×3, first 2 shown]
	v_add_f32_e32 v54, v54, v65
	v_mul_f32_e32 v63, 0x3df6dbef, v40
	v_mul_f32_e32 v65, 0x3e750f2a, v36
	v_add_f32_e32 v53, v53, v64
	v_mov_b32_e32 v64, v63
	v_add_f32_e32 v55, v55, v66
	v_fmac_f32_e32 v63, 0xbf7e222b, v35
	v_fma_f32 v66, v39, s17, -v65
	v_fmac_f32_e32 v65, 0xbf788fa5, v39
	v_mul_f32_e32 v36, 0x3f52af12, v36
	v_fmac_f32_e32 v64, 0x3f7e222b, v35
	v_add_f32_e32 v63, v63, v67
	v_add_f32_e32 v65, v65, v69
	v_mul_f32_e32 v67, 0xbf788fa5, v40
	v_mov_b32_e32 v69, v36
	v_mul_f32_e32 v40, 0x3f116cb1, v40
	v_fma_f32 v36, v39, s7, -v36
	v_add_f32_e32 v64, v64, v68
	v_mov_b32_e32 v68, v67
	v_add_f32_e32 v66, v66, v70
	v_mov_b32_e32 v70, v40
	v_add_f32_e32 v4, v36, v4
	v_add_f32_e32 v36, v25, v27
	v_sub_f32_e32 v25, v25, v27
	v_fmac_f32_e32 v68, 0xbe750f2a, v35
	v_fmac_f32_e32 v67, 0x3e750f2a, v35
	;; [unrolled: 1-line block ×4, first 2 shown]
	v_add_f32_e32 v35, v34, v26
	v_mul_f32_e32 v27, 0xbf29c268, v25
	v_sub_f32_e32 v26, v34, v26
	v_fma_f32 v34, v35, s16, -v27
	v_fmac_f32_e32 v27, 0xbf3f9e67, v35
	v_add_f32_e32 v27, v27, v37
	v_mul_f32_e32 v37, 0xbf3f9e67, v36
	v_fmac_f32_e32 v69, 0x3f116cb1, v39
	v_mov_b32_e32 v39, v37
	v_fmac_f32_e32 v37, 0xbf29c268, v26
	v_fmac_f32_e32 v39, 0x3f29c268, v26
	v_add_f32_e32 v34, v34, v38
	v_add_f32_e32 v37, v37, v41
	v_mul_f32_e32 v38, 0x3f7e222b, v25
	v_mul_f32_e32 v41, 0x3df6dbef, v36
	v_add_f32_e32 v5, v40, v5
	v_add_f32_e32 v39, v39, v42
	v_fma_f32 v40, v35, s6, -v38
	v_fmac_f32_e32 v38, 0x3df6dbef, v35
	v_mov_b32_e32 v42, v41
	v_fmac_f32_e32 v41, 0x3f7e222b, v26
	v_add_f32_e32 v38, v38, v43
	v_fmac_f32_e32 v42, 0xbf7e222b, v26
	v_add_f32_e32 v41, v41, v45
	v_mul_f32_e32 v43, 0xbf52af12, v25
	v_mul_f32_e32 v45, 0x3f116cb1, v36
	v_add_f32_e32 v42, v42, v46
	v_add_f32_e32 v40, v40, v44
	v_fma_f32 v44, v35, s7, -v43
	v_mov_b32_e32 v46, v45
	v_fmac_f32_e32 v45, 0xbf52af12, v26
	v_fmac_f32_e32 v43, 0x3f116cb1, v35
	v_add_f32_e32 v44, v44, v50
	v_add_f32_e32 v50, v45, v52
	v_mul_f32_e32 v45, 0x3e750f2a, v25
	v_add_f32_e32 v43, v43, v47
	v_fma_f32 v47, v35, s17, -v45
	v_fmac_f32_e32 v45, 0xbf788fa5, v35
	v_fmac_f32_e32 v46, 0x3f52af12, v26
	v_add_f32_e32 v52, v45, v54
	v_mul_f32_e32 v45, 0xbf788fa5, v36
	v_add_f32_e32 v75, v75, v79
	v_add_f32_e32 v46, v46, v53
	v_mov_b32_e32 v53, v45
	v_fmac_f32_e32 v45, 0x3e750f2a, v26
	v_add_f32_e32 v71, v71, v75
	v_add_f32_e32 v63, v45, v63
	v_mul_f32_e32 v45, 0x3eedf032, v25
	v_add_f32_e32 v76, v76, v80
	v_add_f32_e32 v78, v78, v82
	;; [unrolled: 1-line block ×4, first 2 shown]
	v_fma_f32 v47, v35, s14, -v45
	v_fmac_f32_e32 v45, 0x3f62ad3f, v35
	v_add_f32_e32 v72, v72, v76
	v_add_f32_e32 v74, v74, v78
	;; [unrolled: 1-line block ×3, first 2 shown]
	v_mul_f32_e32 v45, 0x3f62ad3f, v36
	v_sub_f32_e32 v75, v22, v24
	v_add_f32_e32 v77, v77, v81
	v_add_f32_e32 v68, v68, v72
	;; [unrolled: 1-line block ×3, first 2 shown]
	v_mov_b32_e32 v54, v45
	v_fmac_f32_e32 v45, 0x3eedf032, v26
	v_mul_f32_e32 v25, 0xbf6f5d39, v25
	v_add_f32_e32 v72, v21, v23
	v_sub_f32_e32 v74, v21, v23
	v_mul_f32_e32 v21, 0xbe750f2a, v75
	v_add_f32_e32 v73, v73, v77
	v_fmac_f32_e32 v54, 0xbeedf032, v26
	v_add_f32_e32 v67, v45, v67
	v_mov_b32_e32 v45, v25
	v_fma_f32 v23, v72, s17, -v21
	v_add_f32_e32 v69, v69, v73
	v_add_f32_e32 v68, v54, v68
	v_fmac_f32_e32 v45, 0xbeb58ec6, v35
	v_mul_f32_e32 v36, 0xbeb58ec6, v36
	v_fma_f32 v25, v35, s15, -v25
	v_add_f32_e32 v73, v22, v24
	v_add_f32_e32 v54, v23, v34
	v_mul_f32_e32 v23, 0x3eedf032, v75
	v_add_f32_e32 v69, v45, v69
	v_mov_b32_e32 v45, v36
	v_add_f32_e32 v4, v25, v4
	v_mul_f32_e32 v24, 0xbf788fa5, v73
	v_fma_f32 v25, v72, s14, -v23
	v_fmac_f32_e32 v53, 0xbe750f2a, v26
	v_add_f32_e32 v66, v47, v66
	v_fmac_f32_e32 v45, 0x3f6f5d39, v26
	v_fmac_f32_e32 v36, 0xbf6f5d39, v26
	;; [unrolled: 1-line block ×3, first 2 shown]
	v_mov_b32_e32 v22, v24
	v_fmac_f32_e32 v24, 0xbe750f2a, v74
	v_mul_f32_e32 v26, 0x3f62ad3f, v73
	v_add_f32_e32 v47, v25, v40
	v_mul_f32_e32 v25, 0xbf29c268, v75
	v_add_f32_e32 v21, v21, v27
	v_add_f32_e32 v55, v24, v37
	v_mov_b32_e32 v24, v26
	v_fmac_f32_e32 v26, 0x3eedf032, v74
	v_fma_f32 v27, v72, s16, -v25
	v_mul_f32_e32 v34, 0xbf3f9e67, v73
	v_add_f32_e32 v53, v53, v64
	v_add_f32_e32 v70, v45, v70
	;; [unrolled: 1-line block ×3, first 2 shown]
	v_mov_b32_e32 v26, v34
	v_add_f32_e32 v45, v27, v44
	v_mul_f32_e32 v27, 0x3f52af12, v75
	v_fmac_f32_e32 v25, 0xbf3f9e67, v72
	v_fmac_f32_e32 v26, 0x3f29c268, v74
	;; [unrolled: 1-line block ×3, first 2 shown]
	v_fma_f32 v35, v72, s7, -v27
	v_fmac_f32_e32 v22, 0x3e750f2a, v74
	v_add_f32_e32 v25, v25, v43
	v_add_f32_e32 v26, v26, v46
	v_add_f32_e32 v46, v34, v50
	v_add_f32_e32 v43, v35, v71
	v_mul_f32_e32 v35, 0xbf6f5d39, v75
	v_mul_lo_u32 v50, v3, v58
	v_add_f32_e32 v5, v36, v5
	v_add_f32_e32 v22, v22, v39
	v_fmac_f32_e32 v23, 0x3f62ad3f, v72
	v_mul_f32_e32 v36, 0x3f116cb1, v73
	v_fma_f32 v37, v72, s15, -v35
	v_mul_f32_e32 v39, 0x3f7e222b, v75
	v_add_f32_e32 v23, v23, v38
	v_mov_b32_e32 v34, v36
	v_fmac_f32_e32 v36, 0x3f52af12, v74
	v_mul_f32_e32 v38, 0xbeb58ec6, v73
	v_add_f32_e32 v41, v37, v66
	v_mov_b32_e32 v37, v39
	v_fmac_f32_e32 v24, 0xbeedf032, v74
	v_fmac_f32_e32 v27, 0x3f116cb1, v72
	v_add_f32_e32 v44, v36, v63
	v_fmac_f32_e32 v35, 0xbeb58ec6, v72
	v_mov_b32_e32 v36, v38
	v_fmac_f32_e32 v38, 0xbf6f5d39, v74
	v_fmac_f32_e32 v37, 0x3df6dbef, v72
	v_mul_f32_e32 v40, 0x3df6dbef, v73
	v_fma_f32 v39, v72, s6, -v39
	v_mov_b32_e32 v72, 3
	v_add_f32_e32 v24, v24, v42
	v_add_f32_e32 v27, v27, v52
	v_fmac_f32_e32 v34, 0xbf52af12, v74
	v_add_f32_e32 v42, v38, v67
	v_mov_b32_e32 v38, v40
	v_add_f32_e32 v39, v39, v4
	v_fmac_f32_e32 v40, 0x3f7e222b, v74
	v_lshlrev_b32_sdwa v4, v72, v50 dst_sel:DWORD dst_unused:UNUSED_PAD src0_sel:DWORD src1_sel:BYTE_0
	v_lshlrev_b32_sdwa v52, v72, v50 dst_sel:DWORD dst_unused:UNUSED_PAD src0_sel:DWORD src1_sel:BYTE_1
	v_add_f32_e32 v34, v34, v53
	v_add_f32_e32 v40, v40, v5
	global_load_dwordx2 v[4:5], v4, s[4:5]
	v_mov_b32_e32 v71, 0x1000
	global_load_dwordx2 v[52:53], v52, s[4:5] offset:2048
	v_fmac_f32_e32 v38, 0xbf7e222b, v74
	v_add_f32_e32 v38, v38, v70
	v_or_b32_e32 v70, 16, v58
	v_add_f32_e32 v37, v37, v69
	v_or_b32_e32 v69, 32, v58
	v_or_b32_e32 v66, 48, v58
	v_or_b32_e32 v67, 64, v58
	v_fmac_f32_e32 v36, 0x3f6f5d39, v74
	v_add_f32_e32 v36, v36, v68
	v_or_b32_e32 v68, 0x50, v58
	v_add_f32_e32 v35, v35, v65
	s_waitcnt vmcnt(0)
	v_mul_f32_e32 v63, v5, v53
	v_fma_f32 v63, v4, v52, -v63
	v_mul_f32_e32 v53, v4, v53
	v_bfe_u32 v4, v50, 16, 8
	v_lshl_or_b32 v4, v4, 3, v71
	v_fmac_f32_e32 v53, v5, v52
	global_load_dwordx2 v[4:5], v4, s[4:5]
	s_waitcnt vmcnt(0)
	v_mul_f32_e32 v50, v53, v5
	v_mul_f32_e32 v5, v63, v5
	v_fmac_f32_e32 v5, v4, v53
	v_fma_f32 v50, v4, v63, -v50
	v_mul_f32_e32 v52, v29, v5
	v_mul_f32_e32 v4, v28, v5
	v_fmac_f32_e32 v52, v28, v50
	v_fma_f32 v53, v29, v50, -v4
	v_mul_lo_u32 v50, v3, v70
	v_lshlrev_b32_sdwa v4, v72, v50 dst_sel:DWORD dst_unused:UNUSED_PAD src0_sel:DWORD src1_sel:BYTE_0
	v_lshlrev_b32_sdwa v28, v72, v50 dst_sel:DWORD dst_unused:UNUSED_PAD src0_sel:DWORD src1_sel:BYTE_1
	global_load_dwordx2 v[4:5], v4, s[4:5]
	s_nop 0
	global_load_dwordx2 v[28:29], v28, s[4:5] offset:2048
	s_waitcnt vmcnt(0)
	v_mul_f32_e32 v63, v5, v29
	v_fma_f32 v63, v4, v28, -v63
	v_mul_f32_e32 v29, v4, v29
	v_bfe_u32 v4, v50, 16, 8
	v_lshl_or_b32 v4, v4, 3, v71
	v_fmac_f32_e32 v29, v5, v28
	global_load_dwordx2 v[4:5], v4, s[4:5]
	s_waitcnt vmcnt(0)
	v_mul_f32_e32 v28, v29, v5
	v_mul_f32_e32 v5, v63, v5
	v_fmac_f32_e32 v5, v4, v29
	v_fma_f32 v28, v4, v63, -v28
	v_mul_f32_e32 v50, v51, v5
	v_fmac_f32_e32 v50, v48, v28
	v_mul_f32_e32 v4, v48, v5
	v_mul_lo_u32 v48, v3, v69
	v_fma_f32 v51, v51, v28, -v4
	v_lshlrev_b32_sdwa v4, v72, v48 dst_sel:DWORD dst_unused:UNUSED_PAD src0_sel:DWORD src1_sel:BYTE_0
	v_lshlrev_b32_sdwa v28, v72, v48 dst_sel:DWORD dst_unused:UNUSED_PAD src0_sel:DWORD src1_sel:BYTE_1
	global_load_dwordx2 v[4:5], v4, s[4:5]
	s_nop 0
	global_load_dwordx2 v[28:29], v28, s[4:5] offset:2048
	s_waitcnt vmcnt(0)
	v_mul_f32_e32 v63, v5, v29
	v_fma_f32 v63, v4, v28, -v63
	v_mul_f32_e32 v29, v4, v29
	v_bfe_u32 v4, v48, 16, 8
	v_lshl_or_b32 v4, v4, 3, v71
	v_fmac_f32_e32 v29, v5, v28
	global_load_dwordx2 v[4:5], v4, s[4:5]
	s_waitcnt vmcnt(0)
	v_mul_f32_e32 v28, v29, v5
	v_mul_f32_e32 v5, v63, v5
	v_fmac_f32_e32 v5, v4, v29
	v_fma_f32 v28, v4, v63, -v28
	v_mul_f32_e32 v48, v49, v5
	v_fmac_f32_e32 v48, v30, v28
	v_mul_f32_e32 v4, v30, v5
	v_mul_lo_u32 v30, v3, v66
	v_fma_f32 v49, v49, v28, -v4
	v_lshlrev_b32_sdwa v4, v72, v30 dst_sel:DWORD dst_unused:UNUSED_PAD src0_sel:DWORD src1_sel:BYTE_0
	v_lshlrev_b32_sdwa v28, v72, v30 dst_sel:DWORD dst_unused:UNUSED_PAD src0_sel:DWORD src1_sel:BYTE_1
	global_load_dwordx2 v[4:5], v4, s[4:5]
	s_nop 0
	global_load_dwordx2 v[28:29], v28, s[4:5] offset:2048
	s_waitcnt vmcnt(0)
	v_mul_f32_e32 v63, v5, v29
	v_fma_f32 v63, v4, v28, -v63
	v_mul_f32_e32 v29, v4, v29
	v_bfe_u32 v4, v30, 16, 8
	v_lshl_or_b32 v4, v4, 3, v71
	v_fmac_f32_e32 v29, v5, v28
	global_load_dwordx2 v[4:5], v4, s[4:5]
	s_waitcnt vmcnt(0)
	v_mul_f32_e32 v28, v29, v5
	v_mul_f32_e32 v5, v63, v5
	v_fmac_f32_e32 v5, v4, v29
	v_fma_f32 v28, v4, v63, -v28
	v_mul_f32_e32 v30, v62, v5
	v_mul_f32_e32 v4, v31, v5
	v_fmac_f32_e32 v30, v31, v28
	v_fma_f32 v31, v62, v28, -v4
	v_mul_lo_u32 v62, v3, v67
	v_lshlrev_b32_sdwa v4, v72, v62 dst_sel:DWORD dst_unused:UNUSED_PAD src0_sel:DWORD src1_sel:BYTE_0
	v_lshlrev_b32_sdwa v28, v72, v62 dst_sel:DWORD dst_unused:UNUSED_PAD src0_sel:DWORD src1_sel:BYTE_1
	global_load_dwordx2 v[4:5], v4, s[4:5]
	s_nop 0
	global_load_dwordx2 v[28:29], v28, s[4:5] offset:2048
	s_waitcnt vmcnt(0)
	v_mul_f32_e32 v63, v5, v29
	v_fma_f32 v63, v4, v28, -v63
	v_mul_f32_e32 v29, v4, v29
	v_bfe_u32 v4, v62, 16, 8
	v_lshl_or_b32 v4, v4, 3, v71
	v_fmac_f32_e32 v29, v5, v28
	global_load_dwordx2 v[4:5], v4, s[4:5]
	s_waitcnt vmcnt(0)
	v_mul_f32_e32 v28, v29, v5
	v_mul_f32_e32 v5, v63, v5
	v_fmac_f32_e32 v5, v4, v29
	v_fma_f32 v62, v4, v63, -v28
	v_mul_f32_e32 v28, v61, v5
	v_fmac_f32_e32 v28, v32, v62
	v_mul_f32_e32 v4, v32, v5
	v_mul_lo_u32 v32, v3, v68
	v_fma_f32 v29, v61, v62, -v4
	v_lshlrev_b32_sdwa v4, v72, v32 dst_sel:DWORD dst_unused:UNUSED_PAD src0_sel:DWORD src1_sel:BYTE_0
	v_lshlrev_b32_sdwa v61, v72, v32 dst_sel:DWORD dst_unused:UNUSED_PAD src0_sel:DWORD src1_sel:BYTE_1
	global_load_dwordx2 v[4:5], v4, s[4:5]
	s_nop 0
	global_load_dwordx2 v[61:62], v61, s[4:5] offset:2048
	s_waitcnt vmcnt(0)
	v_mul_f32_e32 v63, v5, v62
	v_fma_f32 v63, v4, v61, -v63
	v_mul_f32_e32 v62, v4, v62
	v_bfe_u32 v4, v32, 16, 8
	v_lshl_or_b32 v4, v4, 3, v71
	v_fmac_f32_e32 v62, v5, v61
	global_load_dwordx2 v[4:5], v4, s[4:5]
	s_waitcnt vmcnt(0)
	v_mul_f32_e32 v32, v62, v5
	v_mul_f32_e32 v5, v63, v5
	v_fmac_f32_e32 v5, v4, v62
	v_fma_f32 v61, v4, v63, -v32
	v_mul_f32_e32 v32, v59, v5
	v_mul_f32_e32 v4, v33, v5
	v_fmac_f32_e32 v32, v33, v61
	v_fma_f32 v33, v59, v61, -v4
	v_or_b32_e32 v59, 0x60, v58
	v_mul_lo_u32 v63, v3, v59
	v_lshlrev_b32_sdwa v4, v72, v63 dst_sel:DWORD dst_unused:UNUSED_PAD src0_sel:DWORD src1_sel:BYTE_0
	v_lshlrev_b32_sdwa v61, v72, v63 dst_sel:DWORD dst_unused:UNUSED_PAD src0_sel:DWORD src1_sel:BYTE_1
	global_load_dwordx2 v[4:5], v4, s[4:5]
	s_nop 0
	global_load_dwordx2 v[61:62], v61, s[4:5] offset:2048
	s_waitcnt vmcnt(0)
	v_mul_f32_e32 v65, v5, v62
	v_fma_f32 v65, v4, v61, -v65
	v_mul_f32_e32 v62, v4, v62
	v_bfe_u32 v4, v63, 16, 8
	v_lshl_or_b32 v4, v4, 3, v71
	v_fmac_f32_e32 v62, v5, v61
	global_load_dwordx2 v[4:5], v4, s[4:5]
	s_waitcnt vmcnt(0)
	v_mul_f32_e32 v61, v62, v5
	v_mul_f32_e32 v5, v65, v5
	v_fmac_f32_e32 v5, v4, v62
	v_fma_f32 v61, v4, v65, -v61
	v_mul_f32_e32 v4, v60, v5
	v_mul_f32_e32 v5, v6, v5
	v_fma_f32 v5, v60, v61, -v5
	v_or_b32_e32 v60, 0x70, v58
	v_fmac_f32_e32 v4, v6, v61
	v_mul_lo_u32 v6, v3, v60
	v_lshlrev_b32_sdwa v61, v72, v6 dst_sel:DWORD dst_unused:UNUSED_PAD src0_sel:DWORD src1_sel:BYTE_0
	v_lshlrev_b32_sdwa v63, v72, v6 dst_sel:DWORD dst_unused:UNUSED_PAD src0_sel:DWORD src1_sel:BYTE_1
	global_load_dwordx2 v[61:62], v61, s[4:5]
	v_bfe_u32 v6, v6, 16, 8
	global_load_dwordx2 v[73:74], v63, s[4:5] offset:2048
	v_lshl_or_b32 v6, v6, 3, v71
	s_waitcnt vmcnt(0)
	v_mul_f32_e32 v63, v62, v74
	v_mul_f32_e32 v65, v61, v74
	v_fma_f32 v63, v61, v73, -v63
	v_fmac_f32_e32 v65, v62, v73
	global_load_dwordx2 v[61:62], v6, s[4:5]
	s_waitcnt vmcnt(0)
	v_mul_f32_e32 v6, v65, v62
	v_mul_f32_e32 v62, v63, v62
	v_fmac_f32_e32 v62, v61, v65
	v_fma_f32 v73, v61, v63, -v6
	v_mul_f32_e32 v6, v8, v62
	v_fmac_f32_e32 v6, v7, v73
	v_mul_f32_e32 v7, v7, v62
	v_or_b32_e32 v61, 0x80, v58
	v_fma_f32 v7, v8, v73, -v7
	v_mul_lo_u32 v8, v3, v61
	v_lshlrev_b32_sdwa v62, v72, v8 dst_sel:DWORD dst_unused:UNUSED_PAD src0_sel:DWORD src1_sel:BYTE_0
	v_lshlrev_b32_sdwa v65, v72, v8 dst_sel:DWORD dst_unused:UNUSED_PAD src0_sel:DWORD src1_sel:BYTE_1
	global_load_dwordx2 v[62:63], v62, s[4:5]
	v_bfe_u32 v8, v8, 16, 8
	global_load_dwordx2 v[73:74], v65, s[4:5] offset:2048
	v_lshl_or_b32 v8, v8, 3, v71
	s_waitcnt vmcnt(0)
	v_mul_f32_e32 v65, v63, v74
	v_mul_f32_e32 v74, v62, v74
	v_fma_f32 v65, v62, v73, -v65
	v_fmac_f32_e32 v74, v63, v73
	global_load_dwordx2 v[62:63], v8, s[4:5]
	s_waitcnt vmcnt(0)
	v_mul_f32_e32 v8, v74, v63
	v_mul_f32_e32 v63, v65, v63
	v_fmac_f32_e32 v63, v62, v74
	v_fma_f32 v73, v62, v65, -v8
	v_mul_f32_e32 v8, v10, v63
	v_fmac_f32_e32 v8, v9, v73
	v_mul_f32_e32 v9, v9, v63
	v_or_b32_e32 v62, 0x90, v58
	v_fma_f32 v9, v10, v73, -v9
	v_mul_lo_u32 v10, v3, v62
	v_lshlrev_b32_sdwa v63, v72, v10 dst_sel:DWORD dst_unused:UNUSED_PAD src0_sel:DWORD src1_sel:BYTE_0
	global_load_dwordx2 v[73:74], v63, s[4:5]
	v_lshlrev_b32_sdwa v63, v72, v10 dst_sel:DWORD dst_unused:UNUSED_PAD src0_sel:DWORD src1_sel:BYTE_1
	global_load_dwordx2 v[75:76], v63, s[4:5] offset:2048
	v_bfe_u32 v10, v10, 16, 8
	v_lshl_or_b32 v10, v10, 3, v71
	s_waitcnt vmcnt(0)
	v_mul_f32_e32 v63, v74, v76
	v_mul_f32_e32 v65, v73, v76
	v_fma_f32 v63, v73, v75, -v63
	v_fmac_f32_e32 v65, v74, v75
	global_load_dwordx2 v[73:74], v10, s[4:5]
	s_waitcnt vmcnt(0)
	v_mul_f32_e32 v10, v65, v74
	v_fma_f32 v75, v73, v63, -v10
	v_mul_f32_e32 v63, v63, v74
	v_fmac_f32_e32 v63, v73, v65
	v_mul_f32_e32 v10, v12, v63
	v_fmac_f32_e32 v10, v11, v75
	v_mul_f32_e32 v11, v11, v63
	v_or_b32_e32 v63, 0xa0, v58
	v_fma_f32 v11, v12, v75, -v11
	v_mul_lo_u32 v12, v3, v63
	v_lshlrev_b32_sdwa v65, v72, v12 dst_sel:DWORD dst_unused:UNUSED_PAD src0_sel:DWORD src1_sel:BYTE_0
	global_load_dwordx2 v[73:74], v65, s[4:5]
	v_lshlrev_b32_sdwa v65, v72, v12 dst_sel:DWORD dst_unused:UNUSED_PAD src0_sel:DWORD src1_sel:BYTE_1
	global_load_dwordx2 v[75:76], v65, s[4:5] offset:2048
	v_bfe_u32 v12, v12, 16, 8
	v_lshl_or_b32 v12, v12, 3, v71
	s_waitcnt vmcnt(0)
	v_mul_f32_e32 v65, v74, v76
	v_mul_f32_e32 v76, v73, v76
	v_fma_f32 v65, v73, v75, -v65
	v_fmac_f32_e32 v76, v74, v75
	global_load_dwordx2 v[73:74], v12, s[4:5]
	s_waitcnt vmcnt(0)
	v_mul_f32_e32 v12, v76, v74
	v_fma_f32 v75, v73, v65, -v12
	v_mul_f32_e32 v65, v65, v74
	v_fmac_f32_e32 v65, v73, v76
	v_mul_f32_e32 v12, v14, v65
	v_fmac_f32_e32 v12, v13, v75
	v_mul_f32_e32 v13, v13, v65
	v_or_b32_e32 v65, 0xb0, v58
	v_fma_f32 v13, v14, v75, -v13
	v_mul_lo_u32 v14, v3, v65
	v_or_b32_e32 v58, 0xc0, v58
	v_lshlrev_b32_sdwa v73, v72, v14 dst_sel:DWORD dst_unused:UNUSED_PAD src0_sel:DWORD src1_sel:BYTE_0
	v_lshlrev_b32_sdwa v75, v72, v14 dst_sel:DWORD dst_unused:UNUSED_PAD src0_sel:DWORD src1_sel:BYTE_1
	global_load_dwordx2 v[73:74], v73, s[4:5]
	v_bfe_u32 v14, v14, 16, 8
	global_load_dwordx2 v[75:76], v75, s[4:5] offset:2048
	v_lshl_or_b32 v14, v14, 3, v71
	s_waitcnt vmcnt(0)
	v_mul_f32_e32 v77, v74, v76
	v_mul_f32_e32 v76, v73, v76
	v_fma_f32 v77, v73, v75, -v77
	v_fmac_f32_e32 v76, v74, v75
	global_load_dwordx2 v[73:74], v14, s[4:5]
	s_waitcnt vmcnt(0)
	v_mul_f32_e32 v14, v76, v74
	v_mul_f32_e32 v74, v77, v74
	v_fmac_f32_e32 v74, v73, v76
	v_fma_f32 v75, v73, v77, -v14
	v_mul_f32_e32 v14, v16, v74
	v_fmac_f32_e32 v14, v15, v75
	v_mul_f32_e32 v15, v15, v74
	v_fma_f32 v15, v16, v75, -v15
	v_mul_lo_u32 v16, v3, v58
	v_lshlrev_b32_sdwa v73, v72, v16 dst_sel:DWORD dst_unused:UNUSED_PAD src0_sel:DWORD src1_sel:BYTE_0
	v_lshlrev_b32_sdwa v75, v72, v16 dst_sel:DWORD dst_unused:UNUSED_PAD src0_sel:DWORD src1_sel:BYTE_1
	global_load_dwordx2 v[73:74], v73, s[4:5]
	v_bfe_u32 v16, v16, 16, 8
	global_load_dwordx2 v[75:76], v75, s[4:5] offset:2048
	v_lshl_or_b32 v16, v16, 3, v71
	s_waitcnt vmcnt(0)
	v_mul_f32_e32 v77, v74, v76
	v_mul_f32_e32 v76, v73, v76
	v_fma_f32 v77, v73, v75, -v77
	v_fmac_f32_e32 v76, v74, v75
	global_load_dwordx2 v[73:74], v16, s[4:5]
	s_waitcnt vmcnt(0)
	v_mul_f32_e32 v16, v76, v74
	v_mul_f32_e32 v74, v77, v74
	v_fmac_f32_e32 v74, v73, v76
	v_fma_f32 v75, v73, v77, -v16
	v_mul_f32_e32 v16, v18, v74
	v_fmac_f32_e32 v16, v17, v75
	v_mul_f32_e32 v17, v17, v74
	v_fma_f32 v17, v18, v75, -v17
	v_mul_lo_u32 v18, v3, v2
	v_lshlrev_b32_sdwa v73, v72, v18 dst_sel:DWORD dst_unused:UNUSED_PAD src0_sel:DWORD src1_sel:BYTE_0
	v_lshlrev_b32_sdwa v75, v72, v18 dst_sel:DWORD dst_unused:UNUSED_PAD src0_sel:DWORD src1_sel:BYTE_1
	global_load_dwordx2 v[73:74], v73, s[4:5]
	v_bfe_u32 v18, v18, 16, 8
	global_load_dwordx2 v[75:76], v75, s[4:5] offset:2048
	v_lshl_or_b32 v18, v18, 3, v71
	s_waitcnt vmcnt(0)
	v_mul_f32_e32 v77, v74, v76
	v_mul_f32_e32 v76, v73, v76
	v_fma_f32 v77, v73, v75, -v77
	v_fmac_f32_e32 v76, v74, v75
	global_load_dwordx2 v[73:74], v18, s[4:5]
	s_waitcnt vmcnt(0)
	v_mul_f32_e32 v18, v76, v74
	v_mul_f32_e32 v74, v77, v74
	v_fmac_f32_e32 v74, v73, v76
	v_fma_f32 v75, v73, v77, -v18
	v_mul_f32_e32 v18, v20, v74
	v_fmac_f32_e32 v18, v19, v75
	v_mul_f32_e32 v19, v19, v74
	v_fma_f32 v19, v20, v75, -v19
	v_or_b32_e32 v20, 16, v2
	v_mul_lo_u32 v20, v3, v20
	v_lshlrev_b32_sdwa v73, v72, v20 dst_sel:DWORD dst_unused:UNUSED_PAD src0_sel:DWORD src1_sel:BYTE_0
	v_lshlrev_b32_sdwa v75, v72, v20 dst_sel:DWORD dst_unused:UNUSED_PAD src0_sel:DWORD src1_sel:BYTE_1
	global_load_dwordx2 v[73:74], v73, s[4:5]
	v_bfe_u32 v20, v20, 16, 8
	global_load_dwordx2 v[75:76], v75, s[4:5] offset:2048
	v_lshl_or_b32 v20, v20, 3, v71
	s_waitcnt vmcnt(0)
	v_mul_f32_e32 v77, v74, v76
	v_mul_f32_e32 v76, v73, v76
	v_fma_f32 v77, v73, v75, -v77
	v_fmac_f32_e32 v76, v74, v75
	global_load_dwordx2 v[73:74], v20, s[4:5]
	s_waitcnt vmcnt(0)
	v_mul_f32_e32 v20, v76, v74
	v_mul_f32_e32 v74, v77, v74
	v_fmac_f32_e32 v74, v73, v76
	v_fma_f32 v75, v73, v77, -v20
	v_mul_f32_e32 v20, v22, v74
	v_fmac_f32_e32 v20, v21, v75
	v_mul_f32_e32 v21, v21, v74
	v_fma_f32 v21, v22, v75, -v21
	v_or_b32_e32 v22, 32, v2
	;; [unrolled: 23-line block ×11, first 2 shown]
	v_mul_lo_u32 v46, v3, v46
	v_or_b32_e32 v2, 0xc0, v2
	v_lshlrev_b32_sdwa v73, v72, v46 dst_sel:DWORD dst_unused:UNUSED_PAD src0_sel:DWORD src1_sel:BYTE_0
	v_lshlrev_b32_sdwa v75, v72, v46 dst_sel:DWORD dst_unused:UNUSED_PAD src0_sel:DWORD src1_sel:BYTE_1
	global_load_dwordx2 v[73:74], v73, s[4:5]
	v_bfe_u32 v46, v46, 16, 8
	global_load_dwordx2 v[75:76], v75, s[4:5] offset:2048
	v_lshl_or_b32 v46, v46, 3, v71
	s_waitcnt vmcnt(0)
	v_mul_f32_e32 v77, v74, v76
	v_mul_f32_e32 v76, v73, v76
	v_fma_f32 v77, v73, v75, -v77
	v_fmac_f32_e32 v76, v74, v75
	global_load_dwordx2 v[73:74], v46, s[4:5]
	s_waitcnt vmcnt(0)
	v_mul_f32_e32 v46, v76, v74
	v_mul_f32_e32 v74, v77, v74
	v_fmac_f32_e32 v74, v73, v76
	v_fma_f32 v75, v73, v77, -v46
	v_mul_f32_e32 v46, v64, v74
	v_fmac_f32_e32 v46, v47, v75
	v_mul_f32_e32 v47, v47, v74
	v_fma_f32 v47, v64, v75, -v47
	v_mul_lo_u32 v64, v3, v2
	v_lshlrev_b32_sdwa v2, v72, v64 dst_sel:DWORD dst_unused:UNUSED_PAD src0_sel:DWORD src1_sel:BYTE_0
	v_lshlrev_b32_sdwa v72, v72, v64 dst_sel:DWORD dst_unused:UNUSED_PAD src0_sel:DWORD src1_sel:BYTE_1
	global_load_dwordx2 v[2:3], v2, s[4:5]
	s_nop 0
	global_load_dwordx2 v[72:73], v72, s[4:5] offset:2048
	s_waitcnt vmcnt(0)
	v_mul_f32_e32 v74, v3, v73
	v_fma_f32 v74, v2, v72, -v74
	v_mul_f32_e32 v73, v2, v73
	v_bfe_u32 v2, v64, 16, 8
	v_lshl_or_b32 v2, v2, 3, v71
	v_fmac_f32_e32 v73, v3, v72
	global_load_dwordx2 v[2:3], v2, s[4:5]
	v_cmp_lt_u32_e64 s[4:5], 56, v0
	s_or_b64 s[0:1], s[4:5], s[0:1]
	s_waitcnt vmcnt(0)
	v_mul_f32_e32 v64, v73, v3
	v_mul_f32_e32 v3, v74, v3
	v_fmac_f32_e32 v3, v2, v73
	v_fma_f32 v64, v2, v74, -v64
	v_mul_f32_e32 v2, v55, v3
	v_fmac_f32_e32 v2, v54, v64
	v_mul_f32_e32 v3, v54, v3
	v_add_lshl_u32 v54, v1, v57, 3
	v_cndmask_b32_e64 v54, -1, v54, s[2:3]
	buffer_store_dwordx2 v[52:53], v54, s[8:11], s13 offen
	v_mul_lo_u32 v52, s12, v70
	v_fma_f32 v3, v55, v64, -v3
	v_add_lshl_u32 v52, v1, v52, 3
	v_cndmask_b32_e64 v52, -1, v52, s[2:3]
	buffer_store_dwordx2 v[50:51], v52, s[8:11], s13 offen
	v_mul_lo_u32 v50, s12, v69
	v_add_lshl_u32 v50, v1, v50, 3
	v_cndmask_b32_e64 v50, -1, v50, s[2:3]
	buffer_store_dwordx2 v[48:49], v50, s[8:11], s13 offen
	v_mul_lo_u32 v48, s12, v66
	;; [unrolled: 4-line block ×7, first 2 shown]
	v_cndmask_b32_e64 v6, 0, 1, vcc
	v_add_lshl_u32 v4, v1, v4, 3
	v_cndmask_b32_e64 v4, -1, v4, s[2:3]
	buffer_store_dwordx2 v[8:9], v4, s[8:11], s13 offen
	v_mul_lo_u32 v4, s12, v62
	v_add_lshl_u32 v4, v1, v4, 3
	v_cndmask_b32_e64 v4, -1, v4, s[2:3]
	buffer_store_dwordx2 v[10:11], v4, s[8:11], s13 offen
	v_mul_lo_u32 v4, s12, v63
	;; [unrolled: 4-line block ×4, first 2 shown]
	v_add_lshl_u32 v4, v1, v4, 3
	v_cndmask_b32_e64 v4, -1, v4, s[2:3]
	buffer_store_dwordx2 v[16:17], v4, s[8:11], s13 offen
	v_lshrrev_b32_e32 v4, 4, v56
	v_mul_u32_u24_e32 v4, 0xc0, v4
	v_or_b32_e32 v4, v4, v56
	v_mul_lo_u32 v5, s12, v4
	v_cmp_gt_u32_e64 s[2:3], 57, v0
	v_cndmask_b32_e64 v0, 0, 1, s[2:3]
	v_cndmask_b32_e64 v0, v6, v0, s[0:1]
	v_and_b32_e32 v0, 1, v0
	v_cmp_eq_u32_e32 vcc, 1, v0
	v_add_lshl_u32 v0, v1, v5, 3
	v_cndmask_b32_e32 v0, -1, v0, vcc
	buffer_store_dwordx2 v[18:19], v0, s[8:11], s13 offen
	v_add_u32_e32 v0, 16, v4
	v_mul_lo_u32 v0, s12, v0
	v_add_lshl_u32 v0, v1, v0, 3
	v_cndmask_b32_e32 v0, -1, v0, vcc
	buffer_store_dwordx2 v[20:21], v0, s[8:11], s13 offen
	v_or_b32_e32 v0, 32, v4
	v_mul_lo_u32 v0, s12, v0
	v_add_lshl_u32 v0, v1, v0, 3
	v_cndmask_b32_e32 v0, -1, v0, vcc
	buffer_store_dwordx2 v[22:23], v0, s[8:11], s13 offen
	v_add_u32_e32 v0, 48, v4
	v_mul_lo_u32 v0, s12, v0
	v_add_lshl_u32 v0, v1, v0, 3
	v_cndmask_b32_e32 v0, -1, v0, vcc
	buffer_store_dwordx2 v[24:25], v0, s[8:11], s13 offen
	v_add_u32_e32 v0, 64, v4
	v_mul_lo_u32 v0, s12, v0
	v_add_lshl_u32 v0, v1, v0, 3
	v_cndmask_b32_e32 v0, -1, v0, vcc
	buffer_store_dwordx2 v[26:27], v0, s[8:11], s13 offen
	v_add_u32_e32 v0, 0x50, v4
	v_mul_lo_u32 v0, s12, v0
	v_add_lshl_u32 v0, v1, v0, 3
	v_cndmask_b32_e32 v0, -1, v0, vcc
	buffer_store_dwordx2 v[34:35], v0, s[8:11], s13 offen
	v_add_u32_e32 v0, 0x60, v4
	v_mul_lo_u32 v0, s12, v0
	v_add_lshl_u32 v0, v1, v0, 3
	v_cndmask_b32_e32 v0, -1, v0, vcc
	buffer_store_dwordx2 v[36:37], v0, s[8:11], s13 offen
	v_add_u32_e32 v0, 0x70, v4
	v_mul_lo_u32 v0, s12, v0
	v_add_lshl_u32 v0, v1, v0, 3
	v_cndmask_b32_e32 v0, -1, v0, vcc
	buffer_store_dwordx2 v[38:39], v0, s[8:11], s13 offen
	v_add_u32_e32 v0, 0x80, v4
	v_mul_lo_u32 v0, s12, v0
	v_add_lshl_u32 v0, v1, v0, 3
	v_cndmask_b32_e32 v0, -1, v0, vcc
	buffer_store_dwordx2 v[40:41], v0, s[8:11], s13 offen
	v_add_u32_e32 v0, 0x90, v4
	v_mul_lo_u32 v0, s12, v0
	v_add_lshl_u32 v0, v1, v0, 3
	v_cndmask_b32_e32 v0, -1, v0, vcc
	buffer_store_dwordx2 v[42:43], v0, s[8:11], s13 offen
	v_add_u32_e32 v0, 0xa0, v4
	v_mul_lo_u32 v0, s12, v0
	v_add_lshl_u32 v0, v1, v0, 3
	v_cndmask_b32_e32 v0, -1, v0, vcc
	buffer_store_dwordx2 v[44:45], v0, s[8:11], s13 offen
	v_add_u32_e32 v0, 0xb0, v4
	v_mul_lo_u32 v0, s12, v0
	v_add_lshl_u32 v0, v1, v0, 3
	v_cndmask_b32_e32 v0, -1, v0, vcc
	buffer_store_dwordx2 v[46:47], v0, s[8:11], s13 offen
	v_add_u32_e32 v0, 0xc0, v4
	v_mul_lo_u32 v0, s12, v0
	v_add_lshl_u32 v0, v1, v0, 3
	v_cndmask_b32_e32 v0, -1, v0, vcc
	buffer_store_dwordx2 v[2:3], v0, s[8:11], s13 offen
	s_endpgm
	.section	.rodata,"a",@progbits
	.p2align	6, 0x0
	.amdhsa_kernel fft_rtc_back_len208_factors_2_8_13_wgs_247_tpt_13_dim3_sp_ip_CI_sbcc_twdbase8_3step_dirReg_intrinsicReadWrite
		.amdhsa_group_segment_fixed_size 0
		.amdhsa_private_segment_fixed_size 0
		.amdhsa_kernarg_size 88
		.amdhsa_user_sgpr_count 6
		.amdhsa_user_sgpr_private_segment_buffer 1
		.amdhsa_user_sgpr_dispatch_ptr 0
		.amdhsa_user_sgpr_queue_ptr 0
		.amdhsa_user_sgpr_kernarg_segment_ptr 1
		.amdhsa_user_sgpr_dispatch_id 0
		.amdhsa_user_sgpr_flat_scratch_init 0
		.amdhsa_user_sgpr_private_segment_size 0
		.amdhsa_uses_dynamic_stack 0
		.amdhsa_system_sgpr_private_segment_wavefront_offset 0
		.amdhsa_system_sgpr_workgroup_id_x 1
		.amdhsa_system_sgpr_workgroup_id_y 0
		.amdhsa_system_sgpr_workgroup_id_z 0
		.amdhsa_system_sgpr_workgroup_info 0
		.amdhsa_system_vgpr_workitem_id 0
		.amdhsa_next_free_vgpr 83
		.amdhsa_next_free_sgpr 28
		.amdhsa_reserve_vcc 1
		.amdhsa_reserve_flat_scratch 0
		.amdhsa_float_round_mode_32 0
		.amdhsa_float_round_mode_16_64 0
		.amdhsa_float_denorm_mode_32 3
		.amdhsa_float_denorm_mode_16_64 3
		.amdhsa_dx10_clamp 1
		.amdhsa_ieee_mode 1
		.amdhsa_fp16_overflow 0
		.amdhsa_exception_fp_ieee_invalid_op 0
		.amdhsa_exception_fp_denorm_src 0
		.amdhsa_exception_fp_ieee_div_zero 0
		.amdhsa_exception_fp_ieee_overflow 0
		.amdhsa_exception_fp_ieee_underflow 0
		.amdhsa_exception_fp_ieee_inexact 0
		.amdhsa_exception_int_div_zero 0
	.end_amdhsa_kernel
	.text
.Lfunc_end0:
	.size	fft_rtc_back_len208_factors_2_8_13_wgs_247_tpt_13_dim3_sp_ip_CI_sbcc_twdbase8_3step_dirReg_intrinsicReadWrite, .Lfunc_end0-fft_rtc_back_len208_factors_2_8_13_wgs_247_tpt_13_dim3_sp_ip_CI_sbcc_twdbase8_3step_dirReg_intrinsicReadWrite
                                        ; -- End function
	.section	.AMDGPU.csdata,"",@progbits
; Kernel info:
; codeLenInByte = 14176
; NumSgprs: 32
; NumVgprs: 83
; ScratchSize: 0
; MemoryBound: 0
; FloatMode: 240
; IeeeMode: 1
; LDSByteSize: 0 bytes/workgroup (compile time only)
; SGPRBlocks: 3
; VGPRBlocks: 20
; NumSGPRsForWavesPerEU: 32
; NumVGPRsForWavesPerEU: 83
; Occupancy: 3
; WaveLimiterHint : 0
; COMPUTE_PGM_RSRC2:SCRATCH_EN: 0
; COMPUTE_PGM_RSRC2:USER_SGPR: 6
; COMPUTE_PGM_RSRC2:TRAP_HANDLER: 0
; COMPUTE_PGM_RSRC2:TGID_X_EN: 1
; COMPUTE_PGM_RSRC2:TGID_Y_EN: 0
; COMPUTE_PGM_RSRC2:TGID_Z_EN: 0
; COMPUTE_PGM_RSRC2:TIDIG_COMP_CNT: 0
	.type	__hip_cuid_1be11ef36dac902c,@object ; @__hip_cuid_1be11ef36dac902c
	.section	.bss,"aw",@nobits
	.globl	__hip_cuid_1be11ef36dac902c
__hip_cuid_1be11ef36dac902c:
	.byte	0                               ; 0x0
	.size	__hip_cuid_1be11ef36dac902c, 1

	.ident	"AMD clang version 19.0.0git (https://github.com/RadeonOpenCompute/llvm-project roc-6.4.0 25133 c7fe45cf4b819c5991fe208aaa96edf142730f1d)"
	.section	".note.GNU-stack","",@progbits
	.addrsig
	.addrsig_sym __hip_cuid_1be11ef36dac902c
	.amdgpu_metadata
---
amdhsa.kernels:
  - .args:
      - .actual_access:  read_only
        .address_space:  global
        .offset:         0
        .size:           8
        .value_kind:     global_buffer
      - .address_space:  global
        .offset:         8
        .size:           8
        .value_kind:     global_buffer
      - .actual_access:  read_only
        .address_space:  global
        .offset:         16
        .size:           8
        .value_kind:     global_buffer
      - .actual_access:  read_only
        .address_space:  global
        .offset:         24
        .size:           8
        .value_kind:     global_buffer
      - .offset:         32
        .size:           8
        .value_kind:     by_value
      - .actual_access:  read_only
        .address_space:  global
        .offset:         40
        .size:           8
        .value_kind:     global_buffer
      - .actual_access:  read_only
        .address_space:  global
        .offset:         48
        .size:           8
        .value_kind:     global_buffer
      - .offset:         56
        .size:           4
        .value_kind:     by_value
      - .actual_access:  read_only
        .address_space:  global
        .offset:         64
        .size:           8
        .value_kind:     global_buffer
      - .actual_access:  read_only
        .address_space:  global
        .offset:         72
        .size:           8
        .value_kind:     global_buffer
      - .address_space:  global
        .offset:         80
        .size:           8
        .value_kind:     global_buffer
    .group_segment_fixed_size: 0
    .kernarg_segment_align: 8
    .kernarg_segment_size: 88
    .language:       OpenCL C
    .language_version:
      - 2
      - 0
    .max_flat_workgroup_size: 247
    .name:           fft_rtc_back_len208_factors_2_8_13_wgs_247_tpt_13_dim3_sp_ip_CI_sbcc_twdbase8_3step_dirReg_intrinsicReadWrite
    .private_segment_fixed_size: 0
    .sgpr_count:     32
    .sgpr_spill_count: 0
    .symbol:         fft_rtc_back_len208_factors_2_8_13_wgs_247_tpt_13_dim3_sp_ip_CI_sbcc_twdbase8_3step_dirReg_intrinsicReadWrite.kd
    .uniform_work_group_size: 1
    .uses_dynamic_stack: false
    .vgpr_count:     83
    .vgpr_spill_count: 0
    .wavefront_size: 64
amdhsa.target:   amdgcn-amd-amdhsa--gfx906
amdhsa.version:
  - 1
  - 2
...

	.end_amdgpu_metadata
